;; amdgpu-corpus repo=ROCm/rocFFT kind=compiled arch=gfx906 opt=O3
	.text
	.amdgcn_target "amdgcn-amd-amdhsa--gfx906"
	.amdhsa_code_object_version 6
	.protected	fft_rtc_back_len1960_factors_4_7_2_7_5_wgs_56_tpt_56_halfLds_half_op_CI_CI_unitstride_sbrr_R2C_dirReg ; -- Begin function fft_rtc_back_len1960_factors_4_7_2_7_5_wgs_56_tpt_56_halfLds_half_op_CI_CI_unitstride_sbrr_R2C_dirReg
	.globl	fft_rtc_back_len1960_factors_4_7_2_7_5_wgs_56_tpt_56_halfLds_half_op_CI_CI_unitstride_sbrr_R2C_dirReg
	.p2align	8
	.type	fft_rtc_back_len1960_factors_4_7_2_7_5_wgs_56_tpt_56_halfLds_half_op_CI_CI_unitstride_sbrr_R2C_dirReg,@function
fft_rtc_back_len1960_factors_4_7_2_7_5_wgs_56_tpt_56_halfLds_half_op_CI_CI_unitstride_sbrr_R2C_dirReg: ; @fft_rtc_back_len1960_factors_4_7_2_7_5_wgs_56_tpt_56_halfLds_half_op_CI_CI_unitstride_sbrr_R2C_dirReg
; %bb.0:
	s_load_dwordx4 s[8:11], s[4:5], 0x58
	s_load_dwordx4 s[12:15], s[4:5], 0x0
	;; [unrolled: 1-line block ×3, first 2 shown]
	v_mul_u32_u24_e32 v1, 0x493, v0
	v_add_u32_sdwa v10, s6, v1 dst_sel:DWORD dst_unused:UNUSED_PAD src0_sel:DWORD src1_sel:WORD_1
	v_mov_b32_e32 v3, 0
	s_waitcnt lgkmcnt(0)
	v_cmp_lt_u64_e64 s[0:1], s[14:15], 2
	v_mov_b32_e32 v1, 0
	v_mov_b32_e32 v11, v3
	s_and_b64 vcc, exec, s[0:1]
	v_mov_b32_e32 v2, 0
	s_cbranch_vccnz .LBB0_8
; %bb.1:
	s_load_dwordx2 s[0:1], s[4:5], 0x10
	s_add_u32 s2, s18, 8
	s_addc_u32 s3, s19, 0
	s_add_u32 s6, s16, 8
	v_mov_b32_e32 v1, 0
	s_addc_u32 s7, s17, 0
	v_mov_b32_e32 v2, 0
	s_waitcnt lgkmcnt(0)
	s_add_u32 s20, s0, 8
	v_mov_b32_e32 v7, v2
	s_addc_u32 s21, s1, 0
	s_mov_b64 s[22:23], 1
	v_mov_b32_e32 v6, v1
.LBB0_2:                                ; =>This Inner Loop Header: Depth=1
	s_load_dwordx2 s[24:25], s[20:21], 0x0
                                        ; implicit-def: $vgpr8_vgpr9
	s_waitcnt lgkmcnt(0)
	v_or_b32_e32 v4, s25, v11
	v_cmp_ne_u64_e32 vcc, 0, v[3:4]
	s_and_saveexec_b64 s[0:1], vcc
	s_xor_b64 s[26:27], exec, s[0:1]
	s_cbranch_execz .LBB0_4
; %bb.3:                                ;   in Loop: Header=BB0_2 Depth=1
	v_cvt_f32_u32_e32 v4, s24
	v_cvt_f32_u32_e32 v5, s25
	s_sub_u32 s0, 0, s24
	s_subb_u32 s1, 0, s25
	v_mac_f32_e32 v4, 0x4f800000, v5
	v_rcp_f32_e32 v4, v4
	v_mul_f32_e32 v4, 0x5f7ffffc, v4
	v_mul_f32_e32 v5, 0x2f800000, v4
	v_trunc_f32_e32 v5, v5
	v_mac_f32_e32 v4, 0xcf800000, v5
	v_cvt_u32_f32_e32 v5, v5
	v_cvt_u32_f32_e32 v4, v4
	v_mul_lo_u32 v8, s0, v5
	v_mul_hi_u32 v9, s0, v4
	v_mul_lo_u32 v13, s1, v4
	v_mul_lo_u32 v12, s0, v4
	v_add_u32_e32 v8, v9, v8
	v_add_u32_e32 v8, v8, v13
	v_mul_hi_u32 v9, v4, v12
	v_mul_lo_u32 v13, v4, v8
	v_mul_hi_u32 v15, v4, v8
	v_mul_hi_u32 v14, v5, v12
	v_mul_lo_u32 v12, v5, v12
	v_mul_hi_u32 v16, v5, v8
	v_add_co_u32_e32 v9, vcc, v9, v13
	v_addc_co_u32_e32 v13, vcc, 0, v15, vcc
	v_mul_lo_u32 v8, v5, v8
	v_add_co_u32_e32 v9, vcc, v9, v12
	v_addc_co_u32_e32 v9, vcc, v13, v14, vcc
	v_addc_co_u32_e32 v12, vcc, 0, v16, vcc
	v_add_co_u32_e32 v8, vcc, v9, v8
	v_addc_co_u32_e32 v9, vcc, 0, v12, vcc
	v_add_co_u32_e32 v4, vcc, v4, v8
	v_addc_co_u32_e32 v5, vcc, v5, v9, vcc
	v_mul_lo_u32 v8, s0, v5
	v_mul_hi_u32 v9, s0, v4
	v_mul_lo_u32 v12, s1, v4
	v_mul_lo_u32 v13, s0, v4
	v_add_u32_e32 v8, v9, v8
	v_add_u32_e32 v8, v8, v12
	v_mul_lo_u32 v14, v4, v8
	v_mul_hi_u32 v15, v4, v13
	v_mul_hi_u32 v16, v4, v8
	v_mul_hi_u32 v12, v5, v13
	v_mul_lo_u32 v13, v5, v13
	v_mul_hi_u32 v9, v5, v8
	v_add_co_u32_e32 v14, vcc, v15, v14
	v_addc_co_u32_e32 v15, vcc, 0, v16, vcc
	v_mul_lo_u32 v8, v5, v8
	v_add_co_u32_e32 v13, vcc, v14, v13
	v_addc_co_u32_e32 v12, vcc, v15, v12, vcc
	v_addc_co_u32_e32 v9, vcc, 0, v9, vcc
	v_add_co_u32_e32 v8, vcc, v12, v8
	v_addc_co_u32_e32 v9, vcc, 0, v9, vcc
	v_add_co_u32_e32 v8, vcc, v4, v8
	v_addc_co_u32_e32 v9, vcc, v5, v9, vcc
	v_mad_u64_u32 v[4:5], s[0:1], v10, v9, 0
	v_mul_hi_u32 v12, v10, v8
	v_add_co_u32_e32 v12, vcc, v12, v4
	v_addc_co_u32_e32 v13, vcc, 0, v5, vcc
	v_mad_u64_u32 v[4:5], s[0:1], v11, v8, 0
	v_mad_u64_u32 v[8:9], s[0:1], v11, v9, 0
	v_add_co_u32_e32 v4, vcc, v12, v4
	v_addc_co_u32_e32 v4, vcc, v13, v5, vcc
	v_addc_co_u32_e32 v5, vcc, 0, v9, vcc
	v_add_co_u32_e32 v8, vcc, v4, v8
	v_addc_co_u32_e32 v9, vcc, 0, v5, vcc
	v_mul_lo_u32 v12, s25, v8
	v_mul_lo_u32 v13, s24, v9
	v_mad_u64_u32 v[4:5], s[0:1], s24, v8, 0
	v_add3_u32 v5, v5, v13, v12
	v_sub_u32_e32 v12, v11, v5
	v_mov_b32_e32 v13, s25
	v_sub_co_u32_e32 v4, vcc, v10, v4
	v_subb_co_u32_e64 v12, s[0:1], v12, v13, vcc
	v_subrev_co_u32_e64 v13, s[0:1], s24, v4
	v_subbrev_co_u32_e64 v12, s[0:1], 0, v12, s[0:1]
	v_cmp_le_u32_e64 s[0:1], s25, v12
	v_cndmask_b32_e64 v14, 0, -1, s[0:1]
	v_cmp_le_u32_e64 s[0:1], s24, v13
	v_cndmask_b32_e64 v13, 0, -1, s[0:1]
	v_cmp_eq_u32_e64 s[0:1], s25, v12
	v_cndmask_b32_e64 v12, v14, v13, s[0:1]
	v_add_co_u32_e64 v13, s[0:1], 2, v8
	v_addc_co_u32_e64 v14, s[0:1], 0, v9, s[0:1]
	v_add_co_u32_e64 v15, s[0:1], 1, v8
	v_addc_co_u32_e64 v16, s[0:1], 0, v9, s[0:1]
	v_subb_co_u32_e32 v5, vcc, v11, v5, vcc
	v_cmp_ne_u32_e64 s[0:1], 0, v12
	v_cmp_le_u32_e32 vcc, s25, v5
	v_cndmask_b32_e64 v12, v16, v14, s[0:1]
	v_cndmask_b32_e64 v14, 0, -1, vcc
	v_cmp_le_u32_e32 vcc, s24, v4
	v_cndmask_b32_e64 v4, 0, -1, vcc
	v_cmp_eq_u32_e32 vcc, s25, v5
	v_cndmask_b32_e32 v4, v14, v4, vcc
	v_cmp_ne_u32_e32 vcc, 0, v4
	v_cndmask_b32_e64 v4, v15, v13, s[0:1]
	v_cndmask_b32_e32 v9, v9, v12, vcc
	v_cndmask_b32_e32 v8, v8, v4, vcc
.LBB0_4:                                ;   in Loop: Header=BB0_2 Depth=1
	s_andn2_saveexec_b64 s[0:1], s[26:27]
	s_cbranch_execz .LBB0_6
; %bb.5:                                ;   in Loop: Header=BB0_2 Depth=1
	v_cvt_f32_u32_e32 v4, s24
	s_sub_i32 s26, 0, s24
	v_rcp_iflag_f32_e32 v4, v4
	v_mul_f32_e32 v4, 0x4f7ffffe, v4
	v_cvt_u32_f32_e32 v4, v4
	v_mul_lo_u32 v5, s26, v4
	v_mul_hi_u32 v5, v4, v5
	v_add_u32_e32 v4, v4, v5
	v_mul_hi_u32 v4, v10, v4
	v_mul_lo_u32 v5, v4, s24
	v_add_u32_e32 v8, 1, v4
	v_sub_u32_e32 v5, v10, v5
	v_subrev_u32_e32 v9, s24, v5
	v_cmp_le_u32_e32 vcc, s24, v5
	v_cndmask_b32_e32 v5, v5, v9, vcc
	v_cndmask_b32_e32 v4, v4, v8, vcc
	v_add_u32_e32 v8, 1, v4
	v_cmp_le_u32_e32 vcc, s24, v5
	v_cndmask_b32_e32 v8, v4, v8, vcc
	v_mov_b32_e32 v9, v3
.LBB0_6:                                ;   in Loop: Header=BB0_2 Depth=1
	s_or_b64 exec, exec, s[0:1]
	v_mul_lo_u32 v12, v9, s24
	v_mul_lo_u32 v13, v8, s25
	v_mad_u64_u32 v[4:5], s[0:1], v8, s24, 0
	s_load_dwordx2 s[0:1], s[6:7], 0x0
	s_load_dwordx2 s[24:25], s[2:3], 0x0
	v_add3_u32 v5, v5, v13, v12
	v_sub_co_u32_e32 v4, vcc, v10, v4
	v_subb_co_u32_e32 v5, vcc, v11, v5, vcc
	s_waitcnt lgkmcnt(0)
	v_mul_lo_u32 v10, s0, v5
	v_mul_lo_u32 v11, s1, v4
	v_mad_u64_u32 v[1:2], s[0:1], s0, v4, v[1:2]
	v_mul_lo_u32 v5, s24, v5
	v_mul_lo_u32 v12, s25, v4
	v_mad_u64_u32 v[6:7], s[0:1], s24, v4, v[6:7]
	s_add_u32 s22, s22, 1
	s_addc_u32 s23, s23, 0
	s_add_u32 s2, s2, 8
	v_add3_u32 v7, v12, v7, v5
	s_addc_u32 s3, s3, 0
	v_mov_b32_e32 v4, s14
	s_add_u32 s6, s6, 8
	v_mov_b32_e32 v5, s15
	s_addc_u32 s7, s7, 0
	v_cmp_ge_u64_e32 vcc, s[22:23], v[4:5]
	s_add_u32 s20, s20, 8
	v_add3_u32 v2, v11, v2, v10
	s_addc_u32 s21, s21, 0
	s_cbranch_vccnz .LBB0_9
; %bb.7:                                ;   in Loop: Header=BB0_2 Depth=1
	v_mov_b32_e32 v11, v9
	v_mov_b32_e32 v10, v8
	s_branch .LBB0_2
.LBB0_8:
	v_mov_b32_e32 v7, v2
	v_mov_b32_e32 v8, v10
	;; [unrolled: 1-line block ×4, first 2 shown]
.LBB0_9:
	s_load_dwordx2 s[0:1], s[4:5], 0x28
	s_lshl_b64 s[6:7], s[14:15], 3
	s_add_u32 s2, s18, s6
	s_addc_u32 s3, s19, s7
                                        ; implicit-def: $vgpr4
                                        ; implicit-def: $vgpr10
                                        ; implicit-def: $vgpr23
                                        ; implicit-def: $vgpr12
                                        ; implicit-def: $vgpr14
                                        ; implicit-def: $vgpr16
                                        ; implicit-def: $vgpr18
                                        ; implicit-def: $vgpr20
                                        ; implicit-def: $vgpr22
	s_waitcnt lgkmcnt(0)
	v_cmp_gt_u64_e32 vcc, s[0:1], v[8:9]
	v_cmp_le_u64_e64 s[0:1], s[0:1], v[8:9]
	s_and_saveexec_b64 s[4:5], s[0:1]
	s_xor_b64 s[0:1], exec, s[4:5]
	s_cbranch_execz .LBB0_11
; %bb.10:
	s_mov_b32 s4, 0x4924925
	v_mul_hi_u32 v1, v0, s4
	v_mul_u32_u24_e32 v1, 56, v1
	v_sub_u32_e32 v4, v0, v1
	v_add_u32_e32 v10, 56, v4
	v_add_u32_e32 v23, 0x70, v4
	;; [unrolled: 1-line block ×7, first 2 shown]
	v_or_b32_e32 v22, 0x1c0, v4
                                        ; implicit-def: $vgpr0
                                        ; implicit-def: $vgpr1_vgpr2
.LBB0_11:
	s_andn2_saveexec_b64 s[4:5], s[0:1]
	s_cbranch_execz .LBB0_13
; %bb.12:
	s_add_u32 s0, s16, s6
	s_addc_u32 s1, s17, s7
	s_load_dwordx2 s[0:1], s[0:1], 0x0
	s_mov_b32 s6, 0x4924925
	v_mul_hi_u32 v3, v0, s6
	s_waitcnt lgkmcnt(0)
	v_mul_lo_u32 v5, s1, v8
	v_mul_lo_u32 v12, s0, v9
	v_mad_u64_u32 v[10:11], s[0:1], s0, v8, 0
	v_mul_u32_u24_e32 v3, 56, v3
	v_sub_u32_e32 v4, v0, v3
	v_add3_u32 v11, v11, v12, v5
	v_lshlrev_b64 v[10:11], 2, v[10:11]
	v_mov_b32_e32 v0, s9
	v_add_co_u32_e64 v3, s[0:1], s8, v10
	v_addc_co_u32_e64 v5, s[0:1], v0, v11, s[0:1]
	v_lshlrev_b64 v[0:1], 2, v[1:2]
	v_lshlrev_b32_e32 v11, 2, v4
	v_add_co_u32_e64 v10, s[0:1], v3, v0
	v_addc_co_u32_e64 v5, s[0:1], v5, v1, s[0:1]
	v_add_co_u32_e64 v0, s[0:1], v10, v11
	v_addc_co_u32_e64 v1, s[0:1], 0, v5, s[0:1]
	s_movk_i32 s0, 0x1000
	v_add_co_u32_e64 v2, s[0:1], s0, v0
	global_load_dword v12, v[0:1], off offset:896
	global_load_dword v13, v[0:1], off offset:1120
	;; [unrolled: 1-line block ×12, first 2 shown]
	v_addc_co_u32_e64 v3, s[0:1], 0, v1, s[0:1]
	global_load_dword v24, v[0:1], off offset:3584
	global_load_dword v25, v[0:1], off offset:3808
	;; [unrolled: 1-line block ×8, first 2 shown]
	global_load_dword v32, v[0:1], off
	global_load_dword v33, v[0:1], off offset:224
	global_load_dword v34, v[0:1], off offset:448
	;; [unrolled: 1-line block ×3, first 2 shown]
	v_or_b32_e32 v0, 0x1500, v11
	v_add_co_u32_e64 v0, s[0:1], v10, v0
	v_or_b32_e32 v36, 0x1c00, v11
	v_addc_co_u32_e64 v1, s[0:1], 0, v5, s[0:1]
	global_load_dword v37, v[0:1], off
	global_load_dword v38, v[2:3], off offset:1504
	global_load_dword v39, v[2:3], off offset:1728
	;; [unrolled: 1-line block ×7, first 2 shown]
	v_add_co_u32_e64 v0, s[0:1], v10, v36
	v_addc_co_u32_e64 v1, s[0:1], 0, v5, s[0:1]
	global_load_dword v5, v[0:1], off
	global_load_dword v36, v[2:3], off offset:3296
	global_load_dword v45, v[2:3], off offset:3520
	v_add_u32_e32 v0, 0, v11
	v_add_u32_e32 v1, 0x200, v0
	;; [unrolled: 1-line block ×9, first 2 shown]
	s_waitcnt vmcnt(33)
	ds_write2_b32 v1, v12, v13 offset0:96 offset1:152
	s_waitcnt vmcnt(31)
	ds_write2_b32 v2, v14, v15 offset0:80 offset1:136
	;; [unrolled: 2-line block ×7, first 2 shown]
	s_waitcnt vmcnt(13)
	ds_write2_b32 v0, v32, v33 offset1:56
	ds_write2_b32 v11, v26, v27 offset0:112 offset1:168
	ds_write2_b32 v46, v28, v29 offset0:96 offset1:152
	;; [unrolled: 1-line block ×3, first 2 shown]
	s_waitcnt vmcnt(9)
	ds_write2_b32 v48, v37, v38 offset0:64 offset1:120
	v_add_u32_e32 v1, 0x1800, v0
	v_add_u32_e32 v10, 56, v4
	;; [unrolled: 1-line block ×4, first 2 shown]
	s_waitcnt vmcnt(5)
	ds_write2_b32 v1, v41, v42 offset0:32 offset1:88
	v_add_u32_e32 v14, 0xe0, v4
	s_waitcnt vmcnt(3)
	ds_write2_b32 v1, v43, v44 offset0:144 offset1:200
	v_add_u32_e32 v16, 0x118, v4
	v_add_u32_e32 v1, 0x1c00, v0
	;; [unrolled: 1-line block ×4, first 2 shown]
	v_or_b32_e32 v22, 0x1c0, v4
	ds_write2_b32 v48, v39, v40 offset0:176 offset1:232
	ds_write2_b32 v0, v34, v35 offset0:112 offset1:168
	s_waitcnt vmcnt(1)
	ds_write2_b32 v1, v5, v36 offset1:56
	s_waitcnt vmcnt(0)
	ds_write_b32 v0, v45 offset:7616
.LBB0_13:
	s_or_b64 exec, exec, s[4:5]
	v_lshl_add_u32 v53, v4, 2, 0
	v_add_u32_e32 v0, 0xe00, v53
	s_load_dwordx2 s[4:5], s[2:3], 0x0
	s_waitcnt lgkmcnt(0)
	; wave barrier
	s_waitcnt lgkmcnt(0)
	v_add_u32_e32 v5, 0x400, v53
	v_add_u32_e32 v11, 0x1400, v53
	ds_read2_b32 v[2:3], v0 offset0:84 offset1:140
	ds_read2_b32 v[24:25], v53 offset1:56
	ds_read2_b32 v[0:1], v5 offset0:192 offset1:234
	ds_read2_b32 v[26:27], v11 offset0:148 offset1:190
	s_waitcnt lgkmcnt(2)
	v_pk_add_f16 v2, v24, v2 neg_lo:[0,1] neg_hi:[0,1]
	v_alignbit_b32 v17, s0, v2, 16
	s_waitcnt lgkmcnt(0)
	v_pk_add_f16 v13, v1, v27 neg_lo:[0,1] neg_hi:[0,1]
	v_alignbit_b32 v15, s0, v13, 16
	v_pk_add_f16 v15, v2, v15
	v_pk_add_f16 v17, v17, v13 neg_lo:[0,1] neg_hi:[0,1]
	v_lshrrev_b32_e32 v19, 16, v2
	v_fma_f16 v21, v2, 2.0, -v15
	v_pk_fma_f16 v2, v24, 2.0, v2 op_sel_hi:[1,0,1] neg_lo:[0,0,1] neg_hi:[0,0,1]
	v_pk_fma_f16 v1, v1, 2.0, v13 op_sel_hi:[1,0,1] neg_lo:[0,0,1] neg_hi:[0,0,1]
	v_fma_f16 v19, v19, 2.0, -v17
	v_pk_add_f16 v13, v2, v1 neg_lo:[0,1] neg_hi:[0,1]
	v_add_u32_e32 v1, 0x1c00, v53
	v_pack_b32_f16 v19, v21, v19
	v_pk_fma_f16 v21, v2, 2.0, v13 op_sel_hi:[1,0,1] neg_lo:[0,0,1] neg_hi:[0,0,1]
	v_add_u32_e32 v24, 0xc00, v53
	ds_read2_b32 v[27:28], v1 offset0:70 offset1:126
	ds_read2_b32 v[29:30], v5 offset0:80 offset1:136
	;; [unrolled: 1-line block ×5, first 2 shown]
	v_add_u32_e32 v5, 0x1a00, v53
	ds_read2_b32 v[35:36], v5 offset0:86 offset1:142
	v_add_u32_e32 v5, 0x200, v53
	ds_read2_b32 v[37:38], v5 offset0:96 offset1:152
	v_add_u32_e32 v5, 0x1000, v53
	v_add_u32_e32 v24, 0x1800, v53
	;; [unrolled: 1-line block ×3, first 2 shown]
	ds_read2_b32 v[39:40], v24 offset0:102 offset1:158
	ds_read2_b32 v[41:42], v5 offset0:180 offset1:236
	;; [unrolled: 1-line block ×5, first 2 shown]
	v_add_u32_e32 v5, 0x1600, v53
	ds_read2_b32 v[49:50], v5 offset0:118 offset1:174
	ds_read2_b32 v[51:52], v53 offset0:112 offset1:168
	v_mad_u32_u24 v5, v4, 12, v53
	v_pack_b32_f16 v11, v15, v17
	s_waitcnt lgkmcnt(0)
	; wave barrier
	s_waitcnt lgkmcnt(0)
	ds_write2_b32 v5, v13, v11 offset0:2 offset1:3
	v_pk_add_f16 v3, v25, v3 neg_lo:[0,1] neg_hi:[0,1]
	v_pk_add_f16 v11, v47, v49 neg_lo:[0,1] neg_hi:[0,1]
	v_alignbit_b32 v13, s0, v11, 16
	v_alignbit_b32 v15, s0, v3, 16
	ds_write2_b32 v5, v21, v19 offset1:1
	v_pk_fma_f16 v5, v25, 2.0, v3 op_sel_hi:[1,0,1] neg_lo:[0,0,1] neg_hi:[0,0,1]
	v_pk_add_f16 v13, v3, v13
	v_pk_add_f16 v15, v15, v11 neg_lo:[0,1] neg_hi:[0,1]
	v_lshrrev_b32_e32 v17, 16, v3
	v_pk_fma_f16 v11, v47, 2.0, v11 op_sel_hi:[1,0,1] neg_lo:[0,0,1] neg_hi:[0,0,1]
	v_fma_f16 v3, v3, 2.0, -v13
	v_fma_f16 v17, v17, 2.0, -v15
	v_pk_add_f16 v11, v5, v11 neg_lo:[0,1] neg_hi:[0,1]
	v_pack_b32_f16 v3, v3, v17
	v_pk_fma_f16 v5, v5, 2.0, v11 op_sel_hi:[1,0,1] neg_lo:[0,0,1] neg_hi:[0,0,1]
	v_lshl_add_u32 v17, v10, 4, 0
	ds_write2_b32 v17, v5, v3 offset1:1
	v_pack_b32_f16 v3, v13, v15
	ds_write2_b32 v17, v11, v3 offset0:2 offset1:3
	v_pk_add_f16 v11, v51, v43 neg_lo:[0,1] neg_hi:[0,1]
	v_pk_add_f16 v3, v48, v50 neg_lo:[0,1] neg_hi:[0,1]
	v_alignbit_b32 v13, s0, v11, 16
	v_pk_fma_f16 v5, v48, 2.0, v3 op_sel_hi:[1,0,1] neg_lo:[0,0,1] neg_hi:[0,0,1]
	v_pk_add_f16 v13, v13, v3 neg_lo:[0,1] neg_hi:[0,1]
	v_alignbit_b32 v3, s0, v3, 16
	v_pk_add_f16 v3, v11, v3
	v_lshrrev_b32_e32 v15, 16, v11
	v_fma_f16 v17, v11, 2.0, -v3
	v_pk_fma_f16 v11, v51, 2.0, v11 op_sel_hi:[1,0,1] neg_lo:[0,0,1] neg_hi:[0,0,1]
	v_fma_f16 v15, v15, 2.0, -v13
	v_pk_add_f16 v5, v11, v5 neg_lo:[0,1] neg_hi:[0,1]
	v_pack_b32_f16 v15, v17, v15
	v_pk_fma_f16 v11, v11, 2.0, v5 op_sel_hi:[1,0,1] neg_lo:[0,0,1] neg_hi:[0,0,1]
	v_lshl_add_u32 v17, v23, 4, 0
	v_pack_b32_f16 v3, v3, v13
	ds_write2_b32 v17, v11, v15 offset1:1
	ds_write2_b32 v17, v5, v3 offset0:2 offset1:3
	v_pk_add_f16 v3, v52, v44 neg_lo:[0,1] neg_hi:[0,1]
	v_pk_add_f16 v11, v45, v39 neg_lo:[0,1] neg_hi:[0,1]
	v_alignbit_b32 v13, s0, v11, 16
	v_alignbit_b32 v15, s0, v3, 16
	v_pk_fma_f16 v5, v52, 2.0, v3 op_sel_hi:[1,0,1] neg_lo:[0,0,1] neg_hi:[0,0,1]
	v_pk_add_f16 v13, v3, v13
	v_pk_add_f16 v15, v15, v11 neg_lo:[0,1] neg_hi:[0,1]
	v_lshrrev_b32_e32 v17, 16, v3
	v_pk_fma_f16 v11, v45, 2.0, v11 op_sel_hi:[1,0,1] neg_lo:[0,0,1] neg_hi:[0,0,1]
	v_fma_f16 v3, v3, 2.0, -v13
	v_fma_f16 v17, v17, 2.0, -v15
	v_pk_add_f16 v11, v5, v11 neg_lo:[0,1] neg_hi:[0,1]
	v_pack_b32_f16 v3, v3, v17
	v_pk_fma_f16 v5, v5, 2.0, v11 op_sel_hi:[1,0,1] neg_lo:[0,0,1] neg_hi:[0,0,1]
	v_lshl_add_u32 v17, v12, 4, 0
	ds_write2_b32 v17, v5, v3 offset1:1
	v_pack_b32_f16 v3, v13, v15
	ds_write2_b32 v17, v11, v3 offset0:2 offset1:3
	v_pk_add_f16 v11, v37, v41 neg_lo:[0,1] neg_hi:[0,1]
	v_pk_add_f16 v3, v46, v40 neg_lo:[0,1] neg_hi:[0,1]
	v_alignbit_b32 v13, s0, v11, 16
	v_pk_fma_f16 v5, v46, 2.0, v3 op_sel_hi:[1,0,1] neg_lo:[0,0,1] neg_hi:[0,0,1]
	v_pk_add_f16 v13, v13, v3 neg_lo:[0,1] neg_hi:[0,1]
	v_alignbit_b32 v3, s0, v3, 16
	v_pk_add_f16 v3, v11, v3
	v_lshrrev_b32_e32 v15, 16, v11
	v_fma_f16 v17, v11, 2.0, -v3
	v_pk_fma_f16 v11, v37, 2.0, v11 op_sel_hi:[1,0,1] neg_lo:[0,0,1] neg_hi:[0,0,1]
	v_fma_f16 v15, v15, 2.0, -v13
	v_pk_add_f16 v5, v11, v5 neg_lo:[0,1] neg_hi:[0,1]
	v_pack_b32_f16 v15, v17, v15
	v_pk_fma_f16 v11, v11, 2.0, v5 op_sel_hi:[1,0,1] neg_lo:[0,0,1] neg_hi:[0,0,1]
	v_lshl_add_u32 v17, v14, 4, 0
	v_pack_b32_f16 v3, v3, v13
	ds_write2_b32 v17, v11, v15 offset1:1
	ds_write2_b32 v17, v5, v3 offset0:2 offset1:3
	v_pk_add_f16 v3, v38, v42 neg_lo:[0,1] neg_hi:[0,1]
	v_pk_add_f16 v11, v33, v35 neg_lo:[0,1] neg_hi:[0,1]
	v_alignbit_b32 v13, s0, v11, 16
	v_alignbit_b32 v15, s0, v3, 16
	v_pk_fma_f16 v5, v38, 2.0, v3 op_sel_hi:[1,0,1] neg_lo:[0,0,1] neg_hi:[0,0,1]
	v_pk_add_f16 v13, v3, v13
	v_pk_add_f16 v15, v15, v11 neg_lo:[0,1] neg_hi:[0,1]
	v_lshrrev_b32_e32 v17, 16, v3
	v_pk_fma_f16 v11, v33, 2.0, v11 op_sel_hi:[1,0,1] neg_lo:[0,0,1] neg_hi:[0,0,1]
	v_fma_f16 v3, v3, 2.0, -v13
	v_fma_f16 v17, v17, 2.0, -v15
	v_pk_add_f16 v11, v5, v11 neg_lo:[0,1] neg_hi:[0,1]
	v_pack_b32_f16 v3, v3, v17
	v_pk_fma_f16 v17, v5, 2.0, v11 op_sel_hi:[1,0,1] neg_lo:[0,0,1] neg_hi:[0,0,1]
	v_lshl_add_u32 v5, v16, 4, 0
	ds_write2_b32 v5, v17, v3 offset1:1
	v_pack_b32_f16 v3, v13, v15
	v_pk_add_f16 v13, v29, v31 neg_lo:[0,1] neg_hi:[0,1]
	ds_write2_b32 v5, v11, v3 offset0:2 offset1:3
	v_pk_add_f16 v3, v34, v36 neg_lo:[0,1] neg_hi:[0,1]
	v_alignbit_b32 v15, s0, v13, 16
	v_pk_fma_f16 v11, v34, 2.0, v3 op_sel_hi:[1,0,1] neg_lo:[0,0,1] neg_hi:[0,0,1]
	v_pk_add_f16 v15, v15, v3 neg_lo:[0,1] neg_hi:[0,1]
	v_alignbit_b32 v3, s0, v3, 16
	v_pk_add_f16 v3, v13, v3
	v_lshrrev_b32_e32 v17, 16, v13
	v_fma_f16 v19, v13, 2.0, -v3
	v_pk_fma_f16 v13, v29, 2.0, v13 op_sel_hi:[1,0,1] neg_lo:[0,0,1] neg_hi:[0,0,1]
	v_fma_f16 v17, v17, 2.0, -v15
	v_pk_add_f16 v11, v13, v11 neg_lo:[0,1] neg_hi:[0,1]
	v_pack_b32_f16 v17, v19, v17
	v_pk_fma_f16 v13, v13, 2.0, v11 op_sel_hi:[1,0,1] neg_lo:[0,0,1] neg_hi:[0,0,1]
	v_lshl_add_u32 v19, v18, 4, 0
	v_pack_b32_f16 v3, v3, v15
	ds_write2_b32 v19, v13, v17 offset1:1
	ds_write2_b32 v19, v11, v3 offset0:2 offset1:3
	v_pk_add_f16 v3, v30, v32 neg_lo:[0,1] neg_hi:[0,1]
	v_pk_add_f16 v13, v1, v27 neg_lo:[0,1] neg_hi:[0,1]
	v_alignbit_b32 v15, s0, v13, 16
	v_alignbit_b32 v17, s0, v3, 16
	v_pk_fma_f16 v11, v30, 2.0, v3 op_sel_hi:[1,0,1] neg_lo:[0,0,1] neg_hi:[0,0,1]
	v_pk_add_f16 v15, v3, v15
	v_pk_add_f16 v17, v17, v13 neg_lo:[0,1] neg_hi:[0,1]
	v_lshrrev_b32_e32 v19, 16, v3
	v_pk_fma_f16 v1, v1, 2.0, v13 op_sel_hi:[1,0,1] neg_lo:[0,0,1] neg_hi:[0,0,1]
	v_fma_f16 v3, v3, 2.0, -v15
	v_fma_f16 v19, v19, 2.0, -v17
	v_pk_add_f16 v1, v11, v1 neg_lo:[0,1] neg_hi:[0,1]
	v_pack_b32_f16 v3, v3, v19
	v_pk_fma_f16 v11, v11, 2.0, v1 op_sel_hi:[1,0,1] neg_lo:[0,0,1] neg_hi:[0,0,1]
	v_lshl_add_u32 v13, v20, 4, 0
	ds_write2_b32 v13, v11, v3 offset1:1
	v_pack_b32_f16 v3, v15, v17
	ds_write2_b32 v13, v1, v3 offset0:2 offset1:3
	v_pk_add_f16 v3, v0, v26 neg_lo:[0,1] neg_hi:[0,1]
	v_pk_add_f16 v1, v2, v28 neg_lo:[0,1] neg_hi:[0,1]
	v_pk_add_f16 v15, v3, v1 op_sel:[0,1] op_sel_hi:[1,0] neg_lo:[0,1] neg_hi:[0,1]
	v_cmp_lt_u32_e64 s[0:1], 41, v4
	v_pk_add_f16 v11, v3, v1 op_sel:[0,1] op_sel_hi:[1,0]
	v_lshrrev_b32_e32 v13, 16, v15
	s_and_saveexec_b64 s[2:3], s[0:1]
	s_xor_b64 s[0:1], exec, s[2:3]
; %bb.14:
                                        ; implicit-def: $vgpr0_vgpr1
                                        ; implicit-def: $vgpr3
                                        ; implicit-def: $vgpr15
                                        ; implicit-def: $vgpr1_vgpr2
                                        ; implicit-def: $vgpr1
; %bb.15:
	s_andn2_saveexec_b64 s[0:1], s[0:1]
	s_cbranch_execz .LBB0_17
; %bb.16:
	v_pk_fma_f16 v0, v0, 2.0, v3 op_sel_hi:[1,0,1] neg_lo:[0,0,1] neg_hi:[0,0,1]
	v_pk_fma_f16 v1, v2, 2.0, v1 op_sel_hi:[1,0,1] neg_lo:[0,0,1] neg_hi:[0,0,1]
	s_mov_b32 s2, 0xffff
	v_pk_add_f16 v1, v0, v1 neg_lo:[0,1] neg_hi:[0,1]
	v_bfi_b32 v2, s2, v11, v15
	v_lshl_add_u32 v17, v22, 4, 0
	v_pk_fma_f16 v0, v0, 2.0, v1 op_sel_hi:[1,0,1] neg_lo:[0,0,1] neg_hi:[0,0,1]
	v_pk_fma_f16 v3, v3, 2.0, v2 op_sel_hi:[1,0,1] neg_lo:[0,0,1] neg_hi:[0,0,1]
	ds_write2_b32 v17, v0, v3 offset1:1
	ds_write2_b32 v17, v1, v2 offset0:2 offset1:3
.LBB0_17:
	s_or_b64 exec, exec, s[0:1]
	v_and_b32_e32 v21, 3, v4
	v_mul_u32_u24_e32 v0, 6, v21
	v_lshlrev_b32_e32 v25, 2, v0
	s_waitcnt lgkmcnt(0)
	; wave barrier
	s_waitcnt lgkmcnt(0)
	global_load_dwordx4 v[0:3], v25, s[12:13]
	v_add_u32_e32 v17, 0x800, v53
	v_add_u32_e32 v26, 0x400, v53
	;; [unrolled: 1-line block ×5, first 2 shown]
	ds_read2_b32 v[28:29], v17 offset0:48 offset1:104
	ds_read2_b32 v[30:31], v19 offset0:96 offset1:152
	;; [unrolled: 1-line block ×7, first 2 shown]
	global_load_dwordx2 v[40:41], v25, s[12:13] offset:16
	s_waitcnt lgkmcnt(6)
	v_lshrrev_b32_e32 v42, 16, v28
	v_lshrrev_b32_e32 v45, 16, v29
	v_mad_i32_i24 v24, v16, -12, v5
	s_waitcnt lgkmcnt(4)
	v_lshrrev_b32_e32 v44, 16, v32
	ds_read_b32 v49, v24
	v_lshrrev_b32_e32 v43, 16, v30
	s_waitcnt lgkmcnt(4)
	v_lshrrev_b32_e32 v46, 16, v34
	v_lshrrev_b32_e32 v48, 16, v33
	;; [unrolled: 1-line block ×3, first 2 shown]
	s_waitcnt lgkmcnt(0)
	v_lshrrev_b32_e32 v55, 16, v49
	v_lshrrev_b32_e32 v50, 16, v36
	;; [unrolled: 1-line block ×6, first 2 shown]
	v_lshl_add_u32 v54, v14, 2, 0
	ds_read_b32 v25, v54
	s_mov_b32 s0, 0xbcab
	s_movk_i32 s3, 0x2b26
	s_mov_b32 s2, 0xb574
	s_movk_i32 s8, 0x39e0
	s_mov_b32 s9, 0xb9e0
	s_mov_b32 s6, 0xbb00
	s_mov_b32 s1, 0xb70e
	s_movk_i32 s7, 0x3574
	s_waitcnt vmcnt(1)
	v_mul_f16_sdwa v58, v42, v1 dst_sel:DWORD dst_unused:UNUSED_PAD src0_sel:DWORD src1_sel:WORD_1
	v_mul_f16_sdwa v64, v45, v1 dst_sel:DWORD dst_unused:UNUSED_PAD src0_sel:DWORD src1_sel:WORD_1
	;; [unrolled: 1-line block ×5, first 2 shown]
	v_fma_f16 v58, v28, v1, v58
	v_fma_f16 v64, v29, v1, v64
	v_lshrrev_b32_e32 v28, 16, v26
	v_mul_f16_sdwa v29, v26, v0 dst_sel:DWORD dst_unused:UNUSED_PAD src0_sel:DWORD src1_sel:WORD_1
	v_mul_f16_sdwa v62, v44, v0 dst_sel:DWORD dst_unused:UNUSED_PAD src0_sel:DWORD src1_sel:WORD_1
	v_fma_f16 v44, v44, v0, -v63
	v_fma_f16 v63, v28, v0, -v29
	v_mul_f16_sdwa v28, v28, v0 dst_sel:DWORD dst_unused:UNUSED_PAD src0_sel:DWORD src1_sel:WORD_1
	v_fma_f16 v45, v45, v1, -v65
	v_fma_f16 v65, v26, v0, v28
	ds_read2_b32 v[28:29], v15 offset0:16 offset1:72
	v_mul_f16_sdwa v60, v43, v3 dst_sel:DWORD dst_unused:UNUSED_PAD src0_sel:DWORD src1_sel:WORD_1
	v_lshrrev_b32_e32 v26, 16, v27
	v_mul_f16_sdwa v61, v30, v3 dst_sel:DWORD dst_unused:UNUSED_PAD src0_sel:DWORD src1_sel:WORD_1
	v_mul_f16_sdwa v66, v46, v2 dst_sel:DWORD dst_unused:UNUSED_PAD src0_sel:DWORD src1_sel:WORD_1
	v_fma_f16 v60, v30, v3, v60
	v_mul_f16_sdwa v30, v26, v0 dst_sel:DWORD dst_unused:UNUSED_PAD src0_sel:DWORD src1_sel:WORD_1
	v_mul_f16_sdwa v67, v34, v2 dst_sel:DWORD dst_unused:UNUSED_PAD src0_sel:DWORD src1_sel:WORD_1
	;; [unrolled: 1-line block ×6, first 2 shown]
	v_fma_f16 v34, v34, v2, v66
	v_fma_f16 v66, v27, v0, v30
	v_mul_f16_sdwa v27, v27, v0 dst_sel:DWORD dst_unused:UNUSED_PAD src0_sel:DWORD src1_sel:WORD_1
	v_mul_f16_sdwa v68, v47, v3 dst_sel:DWORD dst_unused:UNUSED_PAD src0_sel:DWORD src1_sel:WORD_1
	v_fma_f16 v32, v32, v0, v62
	v_fma_f16 v33, v33, v0, v70
	;; [unrolled: 1-line block ×3, first 2 shown]
	v_fma_f16 v62, v55, v0, -v79
	v_fma_f16 v46, v46, v2, -v67
	;; [unrolled: 1-line block ×4, first 2 shown]
	s_waitcnt lgkmcnt(0)
	v_lshrrev_b32_e32 v0, 16, v29
	v_mul_f16_sdwa v26, v29, v2 dst_sel:DWORD dst_unused:UNUSED_PAD src0_sel:DWORD src1_sel:WORD_1
	v_mul_f16_sdwa v69, v31, v3 dst_sel:DWORD dst_unused:UNUSED_PAD src0_sel:DWORD src1_sel:WORD_1
	v_fma_f16 v31, v31, v3, v68
	v_fma_f16 v68, v0, v2, -v26
	v_mul_f16_sdwa v0, v0, v2 dst_sel:DWORD dst_unused:UNUSED_PAD src0_sel:DWORD src1_sel:WORD_1
	v_add_u32_e32 v26, 0xe00, v53
	v_fma_f16 v47, v47, v3, -v69
	v_fma_f16 v69, v29, v2, v0
	ds_read2_b32 v[29:30], v26 offset0:112 offset1:168
	v_lshrrev_b32_e32 v0, 16, v28
	v_mul_f16_sdwa v27, v0, v1 dst_sel:DWORD dst_unused:UNUSED_PAD src0_sel:DWORD src1_sel:WORD_1
	v_mul_f16_sdwa v74, v50, v1 dst_sel:DWORD dst_unused:UNUSED_PAD src0_sel:DWORD src1_sel:WORD_1
	;; [unrolled: 1-line block ×5, first 2 shown]
	v_fma_f16 v70, v28, v1, v27
	v_mul_f16_sdwa v27, v28, v1 dst_sel:DWORD dst_unused:UNUSED_PAD src0_sel:DWORD src1_sel:WORD_1
	v_mul_f16_sdwa v72, v51, v2 dst_sel:DWORD dst_unused:UNUSED_PAD src0_sel:DWORD src1_sel:WORD_1
	v_fma_f16 v36, v36, v1, v74
	v_fma_f16 v37, v37, v1, v75
	v_fma_f16 v42, v42, v1, -v59
	v_fma_f16 v50, v50, v1, -v76
	;; [unrolled: 1-line block ×4, first 2 shown]
	s_waitcnt lgkmcnt(0)
	v_lshrrev_b32_e32 v0, 16, v29
	v_mul_f16_sdwa v1, v29, v2 dst_sel:DWORD dst_unused:UNUSED_PAD src0_sel:DWORD src1_sel:WORD_1
	v_mul_f16_sdwa v73, v35, v2 dst_sel:DWORD dst_unused:UNUSED_PAD src0_sel:DWORD src1_sel:WORD_1
	v_fma_f16 v35, v35, v2, v72
	v_fma_f16 v72, v0, v2, -v1
	v_mul_f16_sdwa v0, v0, v2 dst_sel:DWORD dst_unused:UNUSED_PAD src0_sel:DWORD src1_sel:WORD_1
	v_fma_f16 v29, v29, v2, v0
	v_add_u32_e32 v0, 0x1400, v53
	ds_read2_b32 v[27:28], v0 offset0:64 offset1:120
	v_lshrrev_b32_e32 v1, 16, v30
	v_mul_f16_sdwa v55, v1, v2 dst_sel:DWORD dst_unused:UNUSED_PAD src0_sel:DWORD src1_sel:WORD_1
	v_fma_f16 v51, v51, v2, -v73
	v_fma_f16 v73, v30, v2, v55
	v_mul_f16_sdwa v30, v30, v2 dst_sel:DWORD dst_unused:UNUSED_PAD src0_sel:DWORD src1_sel:WORD_1
	v_fma_f16 v30, v1, v2, -v30
	s_waitcnt lgkmcnt(0)
	v_lshrrev_b32_e32 v1, 16, v27
	v_mul_f16_sdwa v2, v27, v3 dst_sel:DWORD dst_unused:UNUSED_PAD src0_sel:DWORD src1_sel:WORD_1
	v_fma_f16 v74, v1, v3, -v2
	v_mul_f16_sdwa v1, v1, v3 dst_sel:DWORD dst_unused:UNUSED_PAD src0_sel:DWORD src1_sel:WORD_1
	v_mul_f16_sdwa v80, v38, v3 dst_sel:DWORD dst_unused:UNUSED_PAD src0_sel:DWORD src1_sel:WORD_1
	;; [unrolled: 1-line block ×5, first 2 shown]
	v_fma_f16 v75, v27, v3, v1
	v_add_u32_e32 v1, 0x1800, v53
	v_fma_f16 v43, v43, v3, -v61
	v_fma_f16 v59, v56, v3, -v80
	v_fma_f16 v38, v38, v3, v81
	v_fma_f16 v39, v39, v3, v82
	v_fma_f16 v61, v57, v3, -v83
	ds_read2_b32 v[2:3], v1 offset0:144 offset1:200
	v_lshrrev_b32_e32 v27, 16, v28
	s_waitcnt vmcnt(0)
	v_mul_f16_sdwa v55, v27, v40 dst_sel:DWORD dst_unused:UNUSED_PAD src0_sel:DWORD src1_sel:WORD_1
	v_fma_f16 v76, v28, v40, v55
	v_mul_f16_sdwa v28, v28, v40 dst_sel:DWORD dst_unused:UNUSED_PAD src0_sel:DWORD src1_sel:WORD_1
	v_fma_f16 v77, v27, v40, -v28
	s_waitcnt lgkmcnt(0)
	v_lshrrev_b32_e32 v27, 16, v2
	v_mul_f16_sdwa v28, v2, v41 dst_sel:DWORD dst_unused:UNUSED_PAD src0_sel:DWORD src1_sel:WORD_1
	v_fma_f16 v78, v27, v41, -v28
	v_mul_f16_sdwa v27, v27, v41 dst_sel:DWORD dst_unused:UNUSED_PAD src0_sel:DWORD src1_sel:WORD_1
	v_fma_f16 v79, v2, v41, v27
	ds_read2_b32 v[27:28], v0 offset0:176 offset1:232
	v_lshrrev_b32_e32 v2, 16, v3
	v_mul_f16_sdwa v55, v2, v41 dst_sel:DWORD dst_unused:UNUSED_PAD src0_sel:DWORD src1_sel:WORD_1
	v_fma_f16 v80, v3, v41, v55
	v_mul_f16_sdwa v3, v3, v41 dst_sel:DWORD dst_unused:UNUSED_PAD src0_sel:DWORD src1_sel:WORD_1
	v_fma_f16 v81, v2, v41, -v3
	s_waitcnt lgkmcnt(0)
	v_lshrrev_b32_e32 v2, 16, v27
	v_mul_f16_sdwa v3, v27, v40 dst_sel:DWORD dst_unused:UNUSED_PAD src0_sel:DWORD src1_sel:WORD_1
	v_fma_f16 v82, v2, v40, -v3
	v_mul_f16_sdwa v2, v2, v40 dst_sel:DWORD dst_unused:UNUSED_PAD src0_sel:DWORD src1_sel:WORD_1
	v_fma_f16 v83, v27, v40, v2
	v_add_u32_e32 v2, 0x1c00, v53
	ds_read2_b32 v[2:3], v2 offset1:56
	v_lshrrev_b32_e32 v27, 16, v28
	v_mul_f16_sdwa v55, v27, v40 dst_sel:DWORD dst_unused:UNUSED_PAD src0_sel:DWORD src1_sel:WORD_1
	v_fma_f16 v84, v28, v40, v55
	v_mul_f16_sdwa v28, v28, v40 dst_sel:DWORD dst_unused:UNUSED_PAD src0_sel:DWORD src1_sel:WORD_1
	v_fma_f16 v85, v27, v40, -v28
	s_waitcnt lgkmcnt(0)
	v_lshrrev_b32_e32 v27, 16, v2
	v_mul_f16_sdwa v28, v2, v41 dst_sel:DWORD dst_unused:UNUSED_PAD src0_sel:DWORD src1_sel:WORD_1
	v_fma_f16 v86, v27, v41, -v28
	v_mul_f16_sdwa v27, v27, v41 dst_sel:DWORD dst_unused:UNUSED_PAD src0_sel:DWORD src1_sel:WORD_1
	v_fma_f16 v2, v2, v41, v27
	ds_read2_b32 v[27:28], v1 offset0:32 offset1:88
	v_lshrrev_b32_e32 v55, 16, v3
	v_mul_f16_sdwa v56, v55, v41 dst_sel:DWORD dst_unused:UNUSED_PAD src0_sel:DWORD src1_sel:WORD_1
	v_fma_f16 v87, v3, v41, v56
	v_mul_f16_sdwa v3, v3, v41 dst_sel:DWORD dst_unused:UNUSED_PAD src0_sel:DWORD src1_sel:WORD_1
	v_fma_f16 v3, v55, v41, -v3
	s_waitcnt lgkmcnt(0)
	v_lshrrev_b32_e32 v55, 16, v27
	v_mul_f16_sdwa v56, v27, v40 dst_sel:DWORD dst_unused:UNUSED_PAD src0_sel:DWORD src1_sel:WORD_1
	v_fma_f16 v88, v55, v40, -v56
	v_mul_f16_sdwa v55, v55, v40 dst_sel:DWORD dst_unused:UNUSED_PAD src0_sel:DWORD src1_sel:WORD_1
	v_fma_f16 v27, v27, v40, v55
	v_lshrrev_b32_e32 v55, 16, v28
	v_mul_f16_sdwa v56, v55, v40 dst_sel:DWORD dst_unused:UNUSED_PAD src0_sel:DWORD src1_sel:WORD_1
	v_fma_f16 v89, v28, v40, v56
	v_mul_f16_sdwa v28, v28, v40 dst_sel:DWORD dst_unused:UNUSED_PAD src0_sel:DWORD src1_sel:WORD_1
	v_fma_f16 v28, v55, v40, -v28
	v_lshl_add_u32 v55, v12, 2, 0
	ds_read_b32 v90, v55
	ds_read_b32 v40, v53 offset:7616
	v_lshl_add_u32 v56, v23, 2, 0
	v_lshl_add_u32 v57, v10, 2, 0
	ds_read_b32 v91, v56
	ds_read_b32 v92, v57
	;; [unrolled: 1-line block ×3, first 2 shown]
	s_waitcnt lgkmcnt(0)
	v_lshrrev_b32_e32 v94, 16, v40
	v_mul_f16_sdwa v95, v94, v41 dst_sel:DWORD dst_unused:UNUSED_PAD src0_sel:DWORD src1_sel:WORD_1
	v_fma_f16 v95, v40, v41, v95
	v_mul_f16_sdwa v40, v40, v41 dst_sel:DWORD dst_unused:UNUSED_PAD src0_sel:DWORD src1_sel:WORD_1
	v_fma_f16 v40, v94, v41, -v40
	v_add_f16_e32 v41, v49, v79
	v_sub_f16_e32 v49, v49, v79
	v_add_f16_e32 v79, v62, v78
	v_sub_f16_e32 v62, v62, v78
	;; [unrolled: 2-line block ×6, first 2 shown]
	v_add_f16_e32 v68, v78, v41
	v_add_f16_e32 v94, v76, v79
	;; [unrolled: 1-line block ×5, first 2 shown]
	v_add_f16_sdwa v93, v94, v93 dst_sel:DWORD dst_unused:UNUSED_PAD src0_sel:DWORD src1_sel:WORD_1
	v_fma_f16 v68, v68, s0, v96
	v_fma_f16 v94, v94, s0, v93
	v_pack_b32_f16 v93, v96, v93
	v_sub_f16_e32 v96, v41, v77
	v_sub_f16_e32 v97, v79, v69
	;; [unrolled: 1-line block ×3, first 2 shown]
	v_add_f16_e32 v98, v60, v58
	v_sub_f16_e32 v99, v60, v58
	v_add_f16_e32 v100, v43, v42
	v_sub_f16_e32 v101, v43, v42
	v_sub_f16_e32 v77, v77, v78
	;; [unrolled: 1-line block ×4, first 2 shown]
	v_add_f16_e32 v98, v98, v49
	v_add_f16_e32 v100, v100, v62
	v_mul_f16_e32 v96, 0x3a52, v96
	v_mul_f16_e32 v97, 0x3a52, v97
	;; [unrolled: 1-line block ×4, first 2 shown]
	v_sub_f16_e32 v76, v76, v79
	v_sub_f16_e32 v49, v58, v49
	;; [unrolled: 1-line block ×3, first 2 shown]
	v_mul_f16_e32 v62, 0x2b26, v69
	v_fma_f16 v102, v77, s3, v96
	v_fma_f16 v103, v69, s3, v97
	;; [unrolled: 1-line block ×4, first 2 shown]
	v_fma_f16 v62, v76, s8, -v62
	v_fma_f16 v69, v76, s9, -v97
	;; [unrolled: 1-line block ×3, first 2 shown]
	v_mul_f16_e32 v49, 0xbb00, v49
	v_add_f16_e32 v102, v102, v68
	v_add_f16_e32 v103, v103, v94
	v_fma_f16 v104, v98, s1, v104
	v_fma_f16 v105, v100, s1, v105
	v_sub_f16_e32 v41, v78, v41
	v_mul_f16_e32 v58, 0x2b26, v77
	v_fma_f16 v49, v60, s7, -v49
	v_fma_f16 v60, v42, s6, -v101
	v_mul_f16_e32 v42, 0xbb00, v42
	v_add_f16_e32 v106, v105, v102
	v_sub_f16_e32 v107, v103, v104
	v_fma_f16 v58, v41, s8, -v58
	v_fma_f16 v41, v41, s9, -v96
	;; [unrolled: 1-line block ×3, first 2 shown]
	v_pack_b32_f16 v106, v106, v107
	v_lshrrev_b32_e32 v107, 2, v4
	v_add_f16_e32 v43, v58, v68
	v_add_f16_e32 v41, v41, v68
	;; [unrolled: 1-line block ×4, first 2 shown]
	v_fma_f16 v49, v98, s1, v49
	v_fma_f16 v42, v100, s1, v42
	v_mul_u32_u24_e32 v107, 28, v107
	v_fma_f16 v68, v98, s1, v76
	v_fma_f16 v60, v100, s1, v60
	v_add_f16_e32 v69, v42, v41
	v_sub_f16_e32 v76, v62, v49
	v_or_b32_e32 v107, v107, v21
	v_pack_b32_f16 v69, v69, v76
	v_sub_f16_e32 v76, v43, v60
	v_add_f16_e32 v77, v68, v58
	v_add_f16_e32 v43, v60, v43
	v_sub_f16_e32 v58, v58, v68
	v_sub_f16_e32 v41, v41, v42
	v_add_f16_e32 v42, v49, v62
	v_lshl_add_u32 v107, v107, 2, 0
	v_pack_b32_f16 v43, v43, v58
	v_pack_b32_f16 v41, v41, v42
	; wave barrier
	ds_write2_b32 v107, v43, v41 offset0:16 offset1:20
	v_sub_f16_e32 v41, v102, v105
	v_add_f16_e32 v42, v104, v103
	v_pack_b32_f16 v41, v41, v42
	ds_write_b32 v107, v41 offset:96
	v_add_f16_e32 v41, v32, v80
	v_add_f16_e32 v42, v44, v81
	v_sub_f16_e32 v43, v44, v81
	v_add_f16_e32 v44, v64, v83
	v_add_f16_e32 v58, v45, v82
	v_pack_b32_f16 v76, v76, v77
	v_sub_f16_e32 v49, v64, v83
	v_add_f16_e32 v60, v34, v31
	v_sub_f16_e32 v31, v31, v34
	v_add_f16_e32 v34, v46, v47
	;; [unrolled: 2-line block ×3, first 2 shown]
	v_add_f16_e32 v62, v58, v42
	ds_write2_b32 v107, v69, v76 offset0:8 offset1:12
	v_sub_f16_e32 v32, v32, v80
	v_sub_f16_e32 v45, v45, v82
	v_add_f16_e32 v47, v60, v47
	v_add_f16_e32 v62, v34, v62
	;; [unrolled: 1-line block ×3, first 2 shown]
	v_sub_f16_e32 v77, v31, v49
	v_add_f16_e32 v64, v92, v47
	v_add_f16_sdwa v68, v92, v62 dst_sel:DWORD dst_unused:UNUSED_PAD src0_sel:WORD_1 src1_sel:DWORD
	v_sub_f16_e32 v69, v42, v34
	v_sub_f16_e32 v31, v32, v31
	v_add_f16_e32 v78, v46, v45
	v_sub_f16_e32 v79, v46, v45
	v_add_f16_e32 v76, v76, v32
	v_mul_f16_e32 v77, 0x3846, v77
	v_sub_f16_e32 v32, v49, v32
	v_fma_f16 v47, v47, s0, v64
	v_fma_f16 v62, v62, s0, v68
	v_pack_b32_f16 v64, v64, v68
	v_sub_f16_e32 v68, v41, v60
	v_sub_f16_e32 v60, v60, v44
	;; [unrolled: 1-line block ×4, first 2 shown]
	v_add_f16_e32 v78, v78, v43
	v_mul_f16_e32 v69, 0x3a52, v69
	v_mul_f16_e32 v79, 0x3846, v79
	v_lshrrev_b32_e32 v92, 2, v10
	v_sub_f16_e32 v43, v45, v43
	v_fma_f16 v45, v32, s6, -v77
	v_mul_f16_e32 v32, 0xbb00, v32
	v_mul_f16_e32 v68, 0x3a52, v68
	v_fma_f16 v81, v34, s3, v69
	v_fma_f16 v82, v31, s2, v77
	v_mul_lo_u32 v92, v92, 28
	v_sub_f16_e32 v41, v44, v41
	v_sub_f16_e32 v42, v58, v42
	v_mul_f16_e32 v44, 0x2b26, v60
	v_mul_f16_e32 v34, 0x2b26, v34
	v_fma_f16 v31, v31, s7, -v32
	v_fma_f16 v32, v43, s6, -v79
	v_mul_f16_e32 v43, 0xbb00, v43
	v_fma_f16 v44, v41, s8, -v44
	v_fma_f16 v41, v41, s9, -v68
	;; [unrolled: 1-line block ×5, first 2 shown]
	v_fma_f16 v80, v60, s3, v68
	v_add_f16_e32 v41, v41, v47
	v_add_f16_e32 v42, v42, v62
	v_fma_f16 v31, v76, s1, v31
	v_fma_f16 v43, v78, s1, v43
	v_add_f16_e32 v80, v80, v47
	v_fma_f16 v83, v46, s2, v79
	v_add_f16_e32 v44, v44, v47
	v_add_f16_e32 v34, v34, v62
	v_fma_f16 v45, v76, s1, v45
	v_fma_f16 v32, v78, s1, v32
	v_add_f16_e32 v46, v43, v41
	v_sub_f16_e32 v47, v42, v31
	v_or_b32_e32 v92, v92, v21
	v_pack_b32_f16 v46, v46, v47
	v_sub_f16_e32 v47, v44, v32
	v_add_f16_e32 v49, v45, v34
	v_add_f16_e32 v32, v32, v44
	v_sub_f16_e32 v34, v34, v45
	v_sub_f16_e32 v41, v41, v43
	v_add_f16_e32 v31, v31, v42
	v_add_f16_e32 v81, v81, v62
	v_fma_f16 v82, v76, s1, v82
	v_fma_f16 v83, v78, s1, v83
	v_lshl_add_u32 v92, v92, 2, 0
	v_pack_b32_f16 v32, v32, v34
	v_pack_b32_f16 v31, v41, v31
	ds_write2_b32 v107, v93, v106 offset1:4
	ds_write2_b32 v92, v32, v31 offset0:16 offset1:20
	v_sub_f16_e32 v31, v80, v83
	v_add_f16_e32 v32, v82, v81
	v_pack_b32_f16 v31, v31, v32
	v_pack_b32_f16 v47, v47, v49
	ds_write_b32 v92, v31 offset:96
	v_add_f16_e32 v31, v33, v2
	v_add_f16_e32 v32, v48, v86
	;; [unrolled: 1-line block ×4, first 2 shown]
	ds_write2_b32 v92, v46, v47 offset0:8 offset1:12
	v_sub_f16_e32 v36, v36, v84
	v_add_f16_e32 v43, v35, v38
	v_sub_f16_e32 v35, v38, v35
	v_add_f16_e32 v38, v51, v59
	v_add_f16_e32 v45, v34, v31
	;; [unrolled: 1-line block ×3, first 2 shown]
	v_sub_f16_e32 v2, v33, v2
	v_sub_f16_e32 v42, v50, v85
	;; [unrolled: 1-line block ×3, first 2 shown]
	v_add_f16_e32 v45, v43, v45
	v_add_f16_e32 v46, v38, v46
	v_sub_f16_e32 v49, v32, v38
	v_add_f16_e32 v50, v35, v36
	v_sub_f16_e32 v51, v35, v36
	;; [unrolled: 2-line block ×3, first 2 shown]
	v_sub_f16_e32 v33, v48, v86
	v_add_f16_e32 v47, v91, v45
	v_add_f16_sdwa v48, v91, v46 dst_sel:DWORD dst_unused:UNUSED_PAD src0_sel:WORD_1 src1_sel:DWORD
	v_sub_f16_e32 v38, v38, v41
	v_sub_f16_e32 v35, v2, v35
	v_add_f16_e32 v58, v44, v42
	v_sub_f16_e32 v59, v44, v42
	v_add_f16_e32 v50, v50, v2
	v_mul_f16_e32 v49, 0x3a52, v49
	v_mul_f16_e32 v51, 0x3846, v51
	v_sub_f16_e32 v2, v36, v2
	v_pack_b32_f16 v93, v93, v94
	v_fma_f16 v45, v45, s0, v47
	v_fma_f16 v46, v46, s0, v48
	v_pack_b32_f16 v47, v47, v48
	v_sub_f16_e32 v48, v31, v43
	v_sub_f16_e32 v43, v43, v34
	v_sub_f16_e32 v44, v33, v44
	v_add_f16_e32 v58, v58, v33
	v_mul_f16_e32 v59, 0x3846, v59
	v_fma_f16 v62, v38, s3, v49
	v_lshrrev_b32_e32 v69, 2, v23
	v_sub_f16_e32 v33, v42, v33
	v_mul_f16_e32 v36, 0x2b26, v38
	v_fma_f16 v38, v2, s6, -v51
	v_mul_f16_e32 v2, 0xbb00, v2
	ds_write2_b32 v92, v64, v93 offset1:4
	v_mul_f16_e32 v48, 0x3a52, v48
	v_fma_f16 v64, v35, s2, v51
	v_mul_lo_u32 v69, v69, 28
	v_sub_f16_e32 v31, v34, v31
	v_sub_f16_e32 v32, v41, v32
	v_mul_f16_e32 v34, 0x2b26, v43
	v_fma_f16 v2, v35, s7, -v2
	v_fma_f16 v35, v33, s6, -v59
	v_mul_f16_e32 v33, 0xbb00, v33
	v_fma_f16 v34, v31, s8, -v34
	v_fma_f16 v31, v31, s9, -v48
	;; [unrolled: 1-line block ×5, first 2 shown]
	v_add_f16_e32 v31, v31, v45
	v_add_f16_e32 v32, v32, v46
	v_fma_f16 v2, v50, s1, v2
	v_fma_f16 v33, v58, s1, v33
	v_add_f16_e32 v34, v34, v45
	v_add_f16_e32 v36, v36, v46
	v_fma_f16 v38, v50, s1, v38
	v_fma_f16 v35, v58, s1, v35
	v_add_f16_e32 v41, v33, v31
	v_sub_f16_e32 v42, v32, v2
	v_fma_f16 v60, v43, s3, v48
	v_fma_f16 v68, v44, s2, v59
	v_or_b32_e32 v69, v69, v21
	v_pack_b32_f16 v41, v41, v42
	v_sub_f16_e32 v42, v34, v35
	v_add_f16_e32 v34, v35, v34
	v_sub_f16_e32 v35, v36, v38
	v_sub_f16_e32 v31, v31, v33
	v_add_f16_e32 v2, v2, v32
	v_add_f16_e32 v60, v60, v45
	v_add_f16_e32 v62, v62, v46
	v_fma_f16 v64, v50, s1, v64
	v_fma_f16 v68, v58, s1, v68
	v_lshl_add_u32 v69, v69, 2, 0
	v_pack_b32_f16 v32, v34, v35
	v_pack_b32_f16 v2, v31, v2
	ds_write2_b32 v69, v32, v2 offset0:16 offset1:20
	v_sub_f16_e32 v2, v60, v68
	v_add_f16_e32 v31, v64, v62
	v_add_f16_e32 v32, v65, v87
	;; [unrolled: 1-line block ×3, first 2 shown]
	v_pack_b32_f16 v2, v2, v31
	v_add_f16_e32 v43, v38, v36
	v_add_f16_e32 v34, v63, v3
	;; [unrolled: 1-line block ×4, first 2 shown]
	ds_write_b32 v69, v2 offset:96
	v_add_f16_e32 v2, v35, v32
	v_pack_b32_f16 v42, v42, v43
	v_sub_f16_e32 v27, v37, v27
	v_sub_f16_e32 v29, v39, v29
	v_add_f16_e32 v39, v72, v61
	v_sub_f16_e32 v31, v35, v32
	v_sub_f16_e32 v32, v32, v38
	;; [unrolled: 1-line block ×3, first 2 shown]
	v_add_f16_e32 v2, v38, v2
	v_add_f16_e32 v38, v36, v34
	ds_write2_b32 v69, v41, v42 offset0:8 offset1:12
	v_sub_f16_e32 v33, v65, v87
	v_sub_f16_e32 v37, v52, v88
	;; [unrolled: 1-line block ×6, first 2 shown]
	v_add_f16_e32 v38, v39, v38
	v_add_f16_e32 v39, v29, v27
	v_sub_f16_e32 v3, v63, v3
	v_sub_f16_e32 v43, v29, v27
	;; [unrolled: 1-line block ×4, first 2 shown]
	v_add_f16_e32 v33, v39, v33
	v_add_f16_e32 v39, v41, v37
	v_sub_f16_e32 v44, v41, v37
	v_sub_f16_e32 v41, v3, v41
	;; [unrolled: 1-line block ×3, first 2 shown]
	v_add_f16_e32 v3, v39, v3
	v_mul_f16_e32 v32, 0x3a52, v32
	v_mul_f16_e32 v39, 0x2b26, v35
	v_fma_f16 v35, v35, s3, v32
	v_fma_f16 v39, v31, s8, -v39
	v_fma_f16 v31, v31, s9, -v32
	v_mul_f16_e32 v32, 0x3a52, v34
	v_mul_f16_e32 v34, 0x2b26, v36
	v_fma_f16 v36, v36, s3, v32
	v_fma_f16 v34, v42, s8, -v34
	v_fma_f16 v32, v42, s9, -v32
	v_mul_f16_e32 v42, 0x3846, v43
	v_mul_f16_e32 v43, 0xbb00, v27
	v_fma_f16 v27, v27, s6, -v42
	v_fma_f16 v42, v29, s2, v42
	v_fma_f16 v29, v29, s7, -v43
	v_mul_f16_e32 v43, 0x3846, v44
	v_mul_f16_e32 v44, 0xbb00, v37
	v_fma_f16 v37, v37, s6, -v43
	v_fma_f16 v43, v41, s2, v43
	v_fma_f16 v41, v41, s7, -v44
	v_add_f16_e32 v44, v90, v2
	v_fma_f16 v2, v2, s0, v44
	v_add_f16_e32 v35, v35, v2
	v_add_f16_e32 v39, v39, v2
	;; [unrolled: 1-line block ×3, first 2 shown]
	v_add_f16_sdwa v31, v90, v38 dst_sel:DWORD dst_unused:UNUSED_PAD src0_sel:WORD_1 src1_sel:DWORD
	v_fma_f16 v38, v38, s0, v31
	v_add_f16_e32 v76, v68, v60
	v_sub_f16_e32 v77, v62, v64
	v_add_f16_e32 v36, v36, v38
	v_add_f16_e32 v34, v34, v38
	;; [unrolled: 1-line block ×3, first 2 shown]
	v_fma_f16 v38, v33, s1, v42
	v_fma_f16 v27, v33, s1, v27
	v_fma_f16 v29, v33, s1, v29
	v_fma_f16 v33, v3, s1, v43
	v_fma_f16 v37, v3, s1, v37
	v_fma_f16 v3, v3, s1, v41
	v_pack_b32_f16 v76, v76, v77
	v_sub_f16_e32 v41, v39, v37
	v_add_f16_e32 v37, v37, v39
	v_add_f16_e32 v39, v27, v34
	v_sub_f16_e32 v27, v34, v27
	v_add_f16_e32 v34, v3, v2
	v_sub_f16_e32 v2, v2, v3
	v_add_f16_e32 v3, v66, v95
	v_add_f16_e32 v45, v70, v89
	ds_write2_b32 v69, v47, v76 offset1:4
	v_add_f16_e32 v43, v67, v40
	v_add_f16_e32 v47, v71, v28
	;; [unrolled: 1-line block ×4, first 2 shown]
	v_sub_f16_e32 v46, v70, v89
	v_sub_f16_e32 v49, v75, v73
	v_add_f16_e32 v50, v30, v74
	v_sub_f16_e32 v52, v45, v3
	v_sub_f16_e32 v3, v3, v48
	;; [unrolled: 1-line block ×3, first 2 shown]
	v_add_f16_e32 v48, v48, v51
	v_add_f16_e32 v51, v47, v43
	v_sub_f16_e32 v42, v32, v29
	v_add_f16_e32 v29, v29, v32
	v_add_f16_e32 v32, v33, v35
	v_sub_f16_e32 v33, v35, v33
	v_sub_f16_e32 v35, v36, v38
	v_add_f16_e32 v36, v38, v36
	v_sub_f16_e32 v38, v66, v95
	v_sub_f16_e32 v28, v71, v28
	;; [unrolled: 1-line block ×6, first 2 shown]
	v_add_f16_e32 v50, v50, v51
	v_add_f16_e32 v51, v49, v46
	v_sub_f16_e32 v40, v67, v40
	v_sub_f16_e32 v59, v49, v46
	;; [unrolled: 1-line block ×4, first 2 shown]
	v_add_f16_e32 v38, v51, v38
	v_add_f16_e32 v51, v30, v28
	v_sub_f16_e32 v60, v30, v28
	v_sub_f16_e32 v30, v40, v30
	;; [unrolled: 1-line block ×3, first 2 shown]
	v_add_f16_e32 v40, v51, v40
	v_mul_f16_e32 v3, 0x3a52, v3
	v_mul_f16_e32 v51, 0x2b26, v45
	v_fma_f16 v45, v45, s3, v3
	v_fma_f16 v51, v52, s8, -v51
	v_fma_f16 v3, v52, s9, -v3
	v_mul_f16_e32 v43, 0x3a52, v43
	v_mul_f16_e32 v52, 0x2b26, v47
	v_fma_f16 v47, v47, s3, v43
	v_fma_f16 v52, v58, s8, -v52
	v_fma_f16 v43, v58, s9, -v43
	v_mul_f16_e32 v58, 0x3846, v59
	v_mul_f16_e32 v59, 0xbb00, v46
	v_fma_f16 v46, v46, s6, -v58
	v_fma_f16 v58, v49, s2, v58
	v_fma_f16 v49, v49, s7, -v59
	v_mul_f16_e32 v59, 0x3846, v60
	v_mul_f16_e32 v60, 0xbb00, v28
	v_fma_f16 v28, v28, s6, -v59
	v_fma_f16 v59, v30, s2, v59
	v_fma_f16 v30, v30, s7, -v60
	v_add_f16_e32 v60, v25, v48
	v_fma_f16 v48, v48, s0, v60
	v_add_f16_sdwa v25, v25, v50 dst_sel:DWORD dst_unused:UNUSED_PAD src0_sel:WORD_1 src1_sel:DWORD
	v_add_f16_e32 v45, v45, v48
	v_add_f16_e32 v51, v51, v48
	;; [unrolled: 1-line block ×3, first 2 shown]
	v_fma_f16 v48, v50, s0, v25
	v_add_f16_e32 v47, v47, v48
	v_add_f16_e32 v50, v52, v48
	;; [unrolled: 1-line block ×3, first 2 shown]
	v_fma_f16 v48, v38, s1, v58
	v_fma_f16 v46, v38, s1, v46
	;; [unrolled: 1-line block ×6, first 2 shown]
	v_sub_f16_e32 v40, v51, v28
	v_add_f16_e32 v28, v28, v51
	v_add_f16_e32 v51, v46, v50
	v_sub_f16_e32 v46, v50, v46
	v_add_f16_e32 v50, v30, v3
	v_sub_f16_e32 v30, v3, v30
	v_sub_f16_e32 v52, v43, v38
	v_add_f16_e32 v38, v38, v43
	v_add_f16_e32 v43, v49, v45
	v_sub_f16_e32 v3, v45, v49
	v_lshrrev_b32_e32 v45, 2, v12
	v_mul_lo_u32 v45, v45, 28
	v_pack_b32_f16 v2, v2, v29
	v_lshrrev_b32_e32 v29, 2, v14
	v_mul_lo_u32 v29, v29, 28
	v_pack_b32_f16 v31, v44, v31
	v_or_b32_e32 v44, v45, v21
	v_lshl_add_u32 v44, v44, 2, 0
	v_pack_b32_f16 v27, v37, v27
	ds_write2_b32 v44, v27, v2 offset0:16 offset1:20
	v_pack_b32_f16 v2, v33, v36
	v_sub_f16_e32 v49, v47, v48
	v_pack_b32_f16 v32, v32, v35
	ds_write_b32 v44, v2 offset:96
	v_or_b32_e32 v2, v29, v21
	ds_write2_b32 v44, v31, v32 offset1:4
	v_pack_b32_f16 v31, v34, v42
	v_pack_b32_f16 v32, v41, v39
	v_lshl_add_u32 v2, v2, 2, 0
	v_pack_b32_f16 v21, v60, v25
	v_pack_b32_f16 v25, v43, v49
	ds_write2_b32 v44, v31, v32 offset0:8 offset1:12
	ds_write2_b32 v2, v21, v25 offset1:4
	v_pack_b32_f16 v21, v50, v52
	v_pack_b32_f16 v25, v40, v51
	v_add_f16_e32 v61, v48, v47
	ds_write2_b32 v2, v21, v25 offset0:8 offset1:12
	v_pack_b32_f16 v21, v28, v46
	v_pack_b32_f16 v25, v30, v38
	ds_write2_b32 v2, v21, v25 offset0:16 offset1:20
	v_pack_b32_f16 v21, v3, v61
	v_lshl_add_u32 v59, v20, 2, 0
	ds_write_b32 v2, v21 offset:96
	s_waitcnt lgkmcnt(0)
	; wave barrier
	s_waitcnt lgkmcnt(0)
	ds_read_b32 v66, v53
	ds_read_u16 v67, v53 offset:3922
	ds_read2_b32 v[51:52], v26 offset0:84 offset1:140
	ds_read2_b32 v[47:48], v19 offset0:68 offset1:124
	;; [unrolled: 1-line block ×3, first 2 shown]
	v_lshl_add_u32 v60, v18, 2, 0
	ds_read_b32 v62, v55
	ds_read_b32 v63, v54
	;; [unrolled: 1-line block ×3, first 2 shown]
	ds_read2_b32 v[45:46], v0 offset0:36 offset1:92
	ds_read_b32 v21, v59
	v_lshl_add_u32 v58, v22, 2, 0
	ds_read_b32 v64, v24
	ds_read_b32 v19, v58
	ds_read2_b32 v[43:44], v0 offset0:148 offset1:204
	v_add_u32_e32 v0, 0x600, v53
	ds_read2_b32 v[41:42], v0 offset0:120 offset1:176
	ds_read2_b32 v[39:40], v1 offset0:4 offset1:60
	;; [unrolled: 1-line block ×4, first 2 shown]
	v_add_u32_e32 v0, 0xa00, v53
	ds_read2_b32 v[31:32], v0 offset0:88 offset1:144
	v_add_u32_e32 v0, 0x1a00, v53
	ds_read2_b32 v[33:34], v0 offset0:100 offset1:156
	ds_read2_b32 v[29:30], v15 offset0:72 offset1:128
	ds_read_b32 v68, v56
	ds_read_b32 v69, v57
	ds_read_b32 v17, v53 offset:7504
	v_cmp_gt_u32_e64 s[0:1], 28, v4
	s_and_saveexec_b64 s[2:3], s[0:1]
	s_cbranch_execz .LBB0_19
; %bb.18:
	ds_read_b32 v3, v53 offset:3808
	ds_read_b32 v11, v53 offset:7728
	s_waitcnt lgkmcnt(1)
	v_lshrrev_b32_e32 v61, 16, v3
	s_waitcnt lgkmcnt(0)
	v_lshrrev_b32_e32 v13, 16, v11
.LBB0_19:
	s_or_b64 exec, exec, s[2:3]
	v_add_u16_e32 v98, 0x2a0, v4
	v_lshrrev_b16_e32 v99, 2, v98
	v_mul_u32_u24_e32 v99, 0x4925, v99
	v_lshrrev_b32_e32 v99, 17, v99
	v_subrev_u32_e32 v0, 28, v4
	v_mul_lo_u16_e32 v100, 28, v99
	v_cndmask_b32_e64 v0, v0, v4, s[0:1]
	v_mov_b32_e32 v1, 0
	v_sub_u16_e32 v98, v98, v100
	v_add_u16_e32 v100, 0x2d8, v4
	v_lshlrev_b64 v[70:71], 2, v[0:1]
	v_lshrrev_b16_e32 v101, 2, v100
	v_mul_u32_u24_e32 v101, 0x4925, v101
	v_mov_b32_e32 v77, s13
	v_add_co_u32_e64 v70, s[2:3], s12, v70
	v_lshrrev_b32_e32 v101, 17, v101
	v_addc_co_u32_e64 v71, s[2:3], v77, v71, s[2:3]
	v_lshrrev_b16_e32 v77, 2, v10
	v_lshrrev_b16_e32 v81, 2, v23
	v_mul_lo_u16_e32 v102, 28, v101
	v_and_b32_e32 v77, 63, v77
	v_and_b32_e32 v81, 63, v81
	v_sub_u16_e32 v100, v100, v102
	v_add_u16_e32 v102, 0x310, v4
	v_mul_lo_u16_e32 v77, 37, v77
	v_mov_b32_e32 v78, 28
	v_mul_lo_u16_e32 v81, 37, v81
	v_lshrrev_b16_e32 v103, 2, v102
	v_mul_lo_u16_sdwa v79, v77, v78 dst_sel:DWORD dst_unused:UNUSED_PAD src0_sel:BYTE_1 src1_sel:DWORD
	v_mul_lo_u16_sdwa v82, v81, v78 dst_sel:DWORD dst_unused:UNUSED_PAD src0_sel:BYTE_1 src1_sel:DWORD
	v_mul_u32_u24_e32 v103, 0x4925, v103
	v_sub_u16_e32 v79, v10, v79
	v_mov_b32_e32 v80, 2
	v_sub_u16_e32 v82, v23, v82
	v_lshrrev_b32_e32 v103, 17, v103
	v_lshlrev_b32_sdwa v79, v80, v79 dst_sel:DWORD dst_unused:UNUSED_PAD src0_sel:DWORD src1_sel:BYTE_0
	v_lshlrev_b32_sdwa v82, v80, v82 dst_sel:DWORD dst_unused:UNUSED_PAD src0_sel:DWORD src1_sel:BYTE_0
	global_load_dword v83, v[70:71], off offset:96
	global_load_dword v84, v79, s[12:13] offset:96
	global_load_dword v85, v82, s[12:13] offset:96
	v_lshrrev_b16_e32 v70, 2, v12
	v_lshrrev_b16_e32 v89, 2, v18
	v_mul_lo_u16_e32 v104, 28, v103
	v_and_b32_e32 v70, 63, v70
	v_lshrrev_b16_e32 v87, 2, v16
	v_mul_u32_u24_e32 v89, 0x4925, v89
	v_add_u16_e32 v95, 0x1f8, v4
	v_sub_u16_e32 v102, v102, v104
	v_add_u16_e32 v104, 0x348, v4
	v_mul_lo_u16_e32 v70, 37, v70
	v_mul_u32_u24_e32 v87, 0x4925, v87
	v_lshrrev_b32_e32 v89, 17, v89
	v_lshrrev_b16_e32 v96, 2, v95
	v_lshrrev_b16_e32 v105, 2, v104
	v_mul_lo_u16_sdwa v71, v70, v78 dst_sel:DWORD dst_unused:UNUSED_PAD src0_sel:BYTE_1 src1_sel:DWORD
	v_lshrrev_b16_e32 v78, 2, v14
	v_lshrrev_b32_e32 v87, 17, v87
	v_mul_lo_u16_e32 v90, 28, v89
	v_mul_u32_u24_e32 v96, 0x4925, v96
	v_mul_u32_u24_e32 v105, 0x4925, v105
	v_or_b32_e32 v107, 0x380, v4
	v_mul_u32_u24_e32 v78, 0x4925, v78
	v_mul_lo_u16_e32 v88, 28, v87
	v_sub_u16_e32 v90, v18, v90
	v_lshrrev_b32_e32 v96, 17, v96
	v_lshrrev_b32_e32 v105, 17, v105
	v_lshrrev_b16_e32 v108, 2, v107
	v_lshrrev_b32_e32 v78, 17, v78
	v_sub_u16_e32 v88, v16, v88
	v_mul_lo_u16_e32 v97, 28, v96
	v_mul_lo_u16_e32 v106, 28, v105
	v_lshlrev_b32_e32 v90, 2, v90
	v_mul_u32_u24_e32 v108, 0x4925, v108
	v_mul_lo_u16_e32 v86, 28, v78
	v_sub_u16_e32 v95, v95, v97
	v_add_u16_e32 v97, 0x230, v4
	v_sub_u16_e32 v104, v104, v106
	global_load_dword v106, v90, s[12:13] offset:96
	v_lshrrev_b32_e32 v108, 17, v108
	v_lshlrev_b32_e32 v88, 2, v88
	global_load_dword v109, v88, s[12:13] offset:96
	v_sub_u16_e32 v71, v12, v71
	v_sub_u16_e32 v86, v14, v86
	v_mul_lo_u16_e32 v110, 28, v108
	v_lshrrev_b16_e32 v116, 2, v97
	v_sub_u16_e32 v107, v107, v110
	v_lshlrev_b32_e32 v86, 2, v86
	v_lshlrev_b32_sdwa v71, v80, v71 dst_sel:DWORD dst_unused:UNUSED_PAD src0_sel:DWORD src1_sel:BYTE_0
	v_mul_u32_u24_e32 v116, 0x4925, v116
	v_lshlrev_b32_e32 v98, 2, v98
	v_lshlrev_b32_e32 v100, 2, v100
	;; [unrolled: 1-line block ×5, first 2 shown]
	global_load_dword v110, v86, s[12:13] offset:96
	global_load_dword v111, v98, s[12:13] offset:96
	;; [unrolled: 1-line block ×7, first 2 shown]
	v_lshrrev_b32_e32 v116, 17, v116
	v_mul_lo_u16_e32 v117, 28, v116
	v_lshrrev_b16_e32 v91, 2, v20
	v_sub_u16_e32 v97, v97, v117
	v_add_u16_e32 v117, 0x268, v4
	v_mul_u32_u24_e32 v91, 0x4925, v91
	v_lshrrev_b16_e32 v93, 2, v22
	v_lshrrev_b16_e32 v118, 2, v117
	v_lshrrev_b32_e32 v91, 17, v91
	v_mul_u32_u24_e32 v93, 0x4925, v93
	v_mul_u32_u24_e32 v118, 0x4925, v118
	v_mul_lo_u16_e32 v92, 28, v91
	v_lshrrev_b32_e32 v93, 17, v93
	v_lshrrev_b32_e32 v118, 17, v118
	v_sub_u16_e32 v92, v20, v92
	v_mul_lo_u16_e32 v94, 28, v93
	v_mul_lo_u16_e32 v119, 28, v118
	v_lshlrev_b32_e32 v92, 2, v92
	v_sub_u16_e32 v94, v22, v94
	v_sub_u16_e32 v117, v117, v119
	v_lshlrev_b32_e32 v94, 2, v94
	v_lshlrev_b32_e32 v95, 2, v95
	;; [unrolled: 1-line block ×4, first 2 shown]
	global_load_dword v119, v92, s[12:13] offset:96
	global_load_dword v120, v94, s[12:13] offset:96
	;; [unrolled: 1-line block ×5, first 2 shown]
	s_waitcnt vmcnt(16) lgkmcnt(14)
	v_mul_f16_sdwa v124, v67, v83 dst_sel:DWORD dst_unused:UNUSED_PAD src0_sel:DWORD src1_sel:WORD_1
	v_lshrrev_b32_e32 v75, 16, v52
	v_fma_f16 v124, v83, v51, v124
	v_mul_f16_sdwa v51, v83, v51 dst_sel:DWORD dst_unused:UNUSED_PAD src0_sel:WORD_1 src1_sel:DWORD
	s_movk_i32 s6, 0xe0
	v_fma_f16 v51, v67, v83, -v51
	s_waitcnt vmcnt(15)
	v_mul_f16_sdwa v67, v84, v75 dst_sel:DWORD dst_unused:UNUSED_PAD src0_sel:WORD_1 src1_sel:DWORD
	v_mul_u32_u24_sdwa v77, v77, s6 dst_sel:DWORD dst_unused:UNUSED_PAD src0_sel:BYTE_1 src1_sel:DWORD
	v_lshrrev_b32_e32 v76, 16, v47
	v_fma_f16 v67, v84, v52, v67
	v_mul_f16_sdwa v52, v84, v52 dst_sel:DWORD dst_unused:UNUSED_PAD src0_sel:WORD_1 src1_sel:DWORD
	v_mov_b32_e32 v83, 0xe0
	v_cmp_lt_u32_e64 s[2:3], 27, v4
	v_add3_u32 v77, 0, v77, v79
	v_mul_u32_u24_sdwa v79, v81, s6 dst_sel:DWORD dst_unused:UNUSED_PAD src0_sel:BYTE_1 src1_sel:DWORD
	v_fma_f16 v52, v84, v75, -v52
	s_waitcnt vmcnt(14)
	v_mul_f16_sdwa v75, v85, v76 dst_sel:DWORD dst_unused:UNUSED_PAD src0_sel:WORD_1 src1_sel:DWORD
	v_cndmask_b32_e64 v83, 0, v83, s[2:3]
	v_lshlrev_b32_e32 v0, 2, v0
	v_add3_u32 v79, 0, v79, v82
	v_lshrrev_b32_e32 v72, 16, v66
	v_fma_f16 v75, v85, v47, v75
	v_mul_f16_sdwa v47, v85, v47 dst_sel:DWORD dst_unused:UNUSED_PAD src0_sel:WORD_1 src1_sel:DWORD
	v_add3_u32 v0, 0, v83, v0
	s_mov_b32 s2, 0xffff
	s_waitcnt lgkmcnt(1)
	v_lshrrev_b32_e32 v73, 16, v69
	v_fma_f16 v47, v85, v76, -v47
	v_sub_f16_e32 v76, v66, v124
	v_sub_f16_e32 v51, v72, v51
	v_lshrrev_b32_e32 v74, 16, v68
	v_fma_f16 v66, v66, 2.0, -v76
	v_fma_f16 v72, v72, 2.0, -v51
	v_sub_f16_e32 v67, v69, v67
	v_sub_f16_e32 v52, v73, v52
	v_fma_f16 v69, v69, 2.0, -v67
	v_fma_f16 v73, v73, 2.0, -v52
	s_waitcnt vmcnt(13)
	v_pk_mul_f16 v82, v106, v45 op_sel:[0,1]
	v_pk_fma_f16 v83, v106, v45, v82 op_sel:[0,0,1] op_sel_hi:[1,1,0]
	v_pk_fma_f16 v45, v106, v45, v82 op_sel:[0,0,1] op_sel_hi:[1,0,0] neg_lo:[1,0,0] neg_hi:[1,0,0]
	s_waitcnt vmcnt(12)
	v_pk_mul_f16 v82, v109, v50 op_sel:[0,1]
	v_bfi_b32 v45, s2, v83, v45
	v_pk_fma_f16 v83, v109, v50, v82 op_sel:[0,0,1] op_sel_hi:[1,1,0]
	v_pk_fma_f16 v50, v109, v50, v82 op_sel:[0,0,1] op_sel_hi:[1,0,0] neg_lo:[1,0,0] neg_hi:[1,0,0]
	v_bfi_b32 v50, s2, v83, v50
	v_sub_f16_e32 v75, v68, v75
	v_sub_f16_e32 v47, v74, v47
	v_pack_b32_f16 v66, v66, v72
	v_pack_b32_f16 v51, v76, v51
	s_waitcnt vmcnt(11)
	v_pk_mul_f16 v82, v110, v49 op_sel:[0,1]
	v_pk_fma_f16 v83, v110, v49, v82 op_sel:[0,0,1] op_sel_hi:[1,1,0]
	v_pk_fma_f16 v49, v110, v49, v82 op_sel:[0,0,1] op_sel_hi:[1,0,0] neg_lo:[1,0,0] neg_hi:[1,0,0]
	v_bfi_b32 v49, s2, v83, v49
	v_fma_f16 v68, v68, 2.0, -v75
	v_fma_f16 v74, v74, 2.0, -v47
	s_waitcnt vmcnt(5)
	v_pk_mul_f16 v82, v80, v48 op_sel:[0,1]
	v_pk_fma_f16 v83, v80, v48, v82 op_sel:[0,0,1] op_sel_hi:[1,1,0]
	v_pk_fma_f16 v48, v80, v48, v82 op_sel:[0,0,1] op_sel_hi:[1,0,0] neg_lo:[1,0,0] neg_hi:[1,0,0]
	v_mul_u32_u24_sdwa v70, v70, s6 dst_sel:DWORD dst_unused:UNUSED_PAD src0_sel:BYTE_1 src1_sel:DWORD
	v_bfi_b32 v48, s2, v83, v48
	s_waitcnt lgkmcnt(0)
	; wave barrier
	s_waitcnt lgkmcnt(0)
	ds_write2_b32 v0, v66, v51 offset1:28
	v_pack_b32_f16 v0, v69, v73
	v_pack_b32_f16 v51, v67, v52
	v_add3_u32 v70, 0, v70, v71
	v_mul_u32_u24_e32 v71, 0xe0, v78
	v_mul_u32_u24_e32 v78, 0xe0, v87
	;; [unrolled: 1-line block ×3, first 2 shown]
	v_pk_add_f16 v45, v65, v45 neg_lo:[0,1] neg_hi:[0,1]
	v_pk_add_f16 v50, v64, v50 neg_lo:[0,1] neg_hi:[0,1]
	;; [unrolled: 1-line block ×4, first 2 shown]
	ds_write2_b32 v77, v0, v51 offset1:28
	v_pack_b32_f16 v0, v68, v74
	v_pack_b32_f16 v47, v75, v47
	v_add3_u32 v71, 0, v71, v86
	v_add3_u32 v78, 0, v78, v88
	;; [unrolled: 1-line block ×3, first 2 shown]
	v_pk_fma_f16 v65, v65, 2.0, v45 op_sel_hi:[1,0,1] neg_lo:[0,0,1] neg_hi:[0,0,1]
	v_pk_fma_f16 v64, v64, 2.0, v50 op_sel_hi:[1,0,1] neg_lo:[0,0,1] neg_hi:[0,0,1]
	;; [unrolled: 1-line block ×4, first 2 shown]
	ds_write2_b32 v79, v0, v47 offset1:28
	ds_write2_b32 v70, v62, v48 offset1:28
	;; [unrolled: 1-line block ×5, first 2 shown]
	s_waitcnt vmcnt(4)
	v_pk_mul_f16 v45, v46, v119 op_sel:[0,1]
	v_pk_fma_f16 v47, v46, v119, v45 op_sel:[0,0,1] op_sel_hi:[1,1,0]
	v_pk_fma_f16 v45, v46, v119, v45 op_sel:[0,0,1] op_sel_hi:[1,0,0] neg_lo:[0,0,1] neg_hi:[0,0,1]
	v_bfi_b32 v45, s2, v47, v45
	v_mul_u32_u24_e32 v0, 0xe0, v91
	v_pk_add_f16 v45, v21, v45 neg_lo:[0,1] neg_hi:[0,1]
	v_add3_u32 v0, 0, v0, v92
	v_pk_fma_f16 v21, v21, 2.0, v45 op_sel_hi:[1,0,1] neg_lo:[0,0,1] neg_hi:[0,0,1]
	ds_write2_b32 v0, v21, v45 offset1:28
	s_waitcnt vmcnt(3)
	v_pk_mul_f16 v21, v43, v120 op_sel:[0,1]
	v_pk_fma_f16 v45, v43, v120, v21 op_sel:[0,0,1] op_sel_hi:[1,1,0]
	v_pk_fma_f16 v21, v43, v120, v21 op_sel:[0,0,1] op_sel_hi:[1,0,0] neg_lo:[0,0,1] neg_hi:[0,0,1]
	v_bfi_b32 v21, s2, v45, v21
	v_mul_u32_u24_e32 v0, 0xe0, v93
	v_pk_add_f16 v21, v19, v21 neg_lo:[0,1] neg_hi:[0,1]
	v_add3_u32 v0, 0, v0, v94
	v_pk_fma_f16 v19, v19, 2.0, v21 op_sel_hi:[1,0,1] neg_lo:[0,0,1] neg_hi:[0,0,1]
	ds_write2_b32 v0, v19, v21 offset1:28
	;; [unrolled: 10-line block ×5, first 2 shown]
	v_pk_mul_f16 v19, v35, v111 op_sel:[0,1]
	v_pk_fma_f16 v21, v35, v111, v19 op_sel:[0,0,1] op_sel_hi:[1,1,0]
	v_pk_fma_f16 v19, v35, v111, v19 op_sel:[0,0,1] op_sel_hi:[1,0,0] neg_lo:[0,0,1] neg_hi:[0,0,1]
	v_bfi_b32 v19, s2, v21, v19
	v_mul_u32_u24_e32 v0, 0xe0, v99
	v_pk_add_f16 v19, v38, v19 neg_lo:[0,1] neg_hi:[0,1]
	v_add3_u32 v0, 0, v0, v98
	v_pk_fma_f16 v21, v38, 2.0, v19 op_sel_hi:[1,0,1] neg_lo:[0,0,1] neg_hi:[0,0,1]
	ds_write2_b32 v0, v21, v19 offset1:28
	v_pk_mul_f16 v19, v36, v112 op_sel:[0,1]
	v_pk_fma_f16 v21, v36, v112, v19 op_sel:[0,0,1] op_sel_hi:[1,1,0]
	v_pk_fma_f16 v19, v36, v112, v19 op_sel:[0,0,1] op_sel_hi:[1,0,0] neg_lo:[0,0,1] neg_hi:[0,0,1]
	v_bfi_b32 v19, s2, v21, v19
	v_mul_u32_u24_e32 v0, 0xe0, v101
	v_pk_add_f16 v19, v31, v19 neg_lo:[0,1] neg_hi:[0,1]
	v_add3_u32 v0, 0, v0, v100
	v_pk_fma_f16 v21, v31, 2.0, v19 op_sel_hi:[1,0,1] neg_lo:[0,0,1] neg_hi:[0,0,1]
	ds_write2_b32 v0, v21, v19 offset1:28
	;; [unrolled: 9-line block ×4, first 2 shown]
	v_pk_mul_f16 v19, v17, v115 op_sel:[0,1]
	v_pk_fma_f16 v21, v17, v115, v19 op_sel:[0,0,1] op_sel_hi:[1,1,0]
	v_pk_fma_f16 v17, v17, v115, v19 op_sel:[0,0,1] op_sel_hi:[1,0,0] neg_lo:[0,0,1] neg_hi:[0,0,1]
	v_bfi_b32 v17, s2, v21, v17
	v_mul_u32_u24_e32 v0, 0xe0, v108
	v_pk_add_f16 v17, v30, v17 neg_lo:[0,1] neg_hi:[0,1]
	v_lshlrev_b32_e32 v28, 2, v10
	v_lshlrev_b32_e32 v27, 2, v23
	;; [unrolled: 1-line block ×6, first 2 shown]
	v_mul_i32_i24_e32 v15, -12, v16
	v_add3_u32 v0, 0, v0, v107
	v_pk_fma_f16 v19, v30, 2.0, v17 op_sel_hi:[1,0,1] neg_lo:[0,0,1] neg_hi:[0,0,1]
	ds_write2_b32 v0, v19, v17 offset1:28
	s_and_saveexec_b64 s[2:3], s[0:1]
	s_cbranch_execz .LBB0_21
; %bb.20:
	v_add_u16_e32 v0, 0x3b8, v4
	v_lshrrev_b16_e32 v17, 2, v0
	v_mul_u32_u24_e32 v17, 0x4925, v17
	v_lshrrev_b32_e32 v17, 17, v17
	v_mul_lo_u16_e32 v17, 28, v17
	v_sub_u16_e32 v0, v0, v17
	v_lshlrev_b32_e32 v0, 2, v0
	global_load_dword v17, v0, s[12:13] offset:96
	v_add_u32_e32 v0, 0, v0
	v_add_u32_e32 v0, 0x1c00, v0
	s_waitcnt vmcnt(0)
	v_mul_f16_sdwa v19, v13, v17 dst_sel:DWORD dst_unused:UNUSED_PAD src0_sel:DWORD src1_sel:WORD_1
	v_mul_f16_sdwa v21, v11, v17 dst_sel:DWORD dst_unused:UNUSED_PAD src0_sel:DWORD src1_sel:WORD_1
	v_fma_f16 v11, v11, v17, v19
	v_fma_f16 v13, v13, v17, -v21
	v_sub_f16_e32 v11, v3, v11
	v_sub_f16_e32 v13, v61, v13
	v_fma_f16 v3, v3, 2.0, -v11
	v_fma_f16 v17, v61, 2.0, -v13
	v_pack_b32_f16 v11, v11, v13
	v_pack_b32_f16 v3, v3, v17
	ds_write2_b32 v0, v3, v11 offset0:112 offset1:140
.LBB0_21:
	s_or_b64 exec, exec, s[2:3]
	v_mul_u32_u24_e32 v0, 6, v4
	v_lshlrev_b32_e32 v29, 2, v0
	s_waitcnt lgkmcnt(0)
	; wave barrier
	s_waitcnt lgkmcnt(0)
	global_load_dwordx4 v[33:36], v29, s[12:13] offset:208
	v_add_u32_e32 v11, 0x800, v53
	v_add_u32_e32 v19, 0x1200, v53
	v_lshrrev_b16_e32 v32, 3, v23
	ds_read_b32 v87, v53
	ds_read_b32 v21, v55
	v_add_u32_e32 v30, v5, v15
	v_add_u32_e32 v15, 0xc00, v53
	;; [unrolled: 1-line block ×8, first 2 shown]
	ds_read2_b32 v[44:45], v11 offset0:48 offset1:104
	ds_read2_b32 v[49:50], v15 offset0:16 offset1:72
	;; [unrolled: 1-line block ×10, first 2 shown]
	ds_read2_b32 v[73:74], v5 offset1:56
	ds_read2_b32 v[75:76], v0 offset0:192 offset1:248
	ds_read2_b32 v[77:78], v31 offset0:112 offset1:168
	ds_read2_b32 v[79:80], v17 offset0:32 offset1:88
	v_and_b32_e32 v19, 31, v32
	v_mov_b32_e32 v48, 56
	v_mul_lo_u16_e32 v19, 37, v19
	v_mul_lo_u16_sdwa v19, v19, v48 dst_sel:DWORD dst_unused:UNUSED_PAD src0_sel:BYTE_1 src1_sel:DWORD
	v_sub_u16_e32 v19, v23, v19
	v_and_b32_e32 v19, 0xff, v19
	v_mul_u32_u24_e32 v31, 6, v19
	v_lshlrev_b32_e32 v32, 2, v31
	global_load_dwordx4 v[37:40], v32, s[12:13] offset:208
	v_lshrrev_b16_e32 v41, 3, v12
	ds_read_b32 v42, v30
	ds_read_b32 v31, v54
	v_and_b32_e32 v41, 31, v41
	global_load_dwordx2 v[81:82], v29, s[12:13] offset:224
	global_load_dwordx2 v[83:84], v32, s[12:13] offset:224
	v_mul_lo_u16_e32 v29, 37, v41
	s_waitcnt lgkmcnt(14)
	v_lshrrev_b32_e32 v85, 16, v50
	v_mul_lo_u16_sdwa v29, v29, v48 dst_sel:DWORD dst_unused:UNUSED_PAD src0_sel:BYTE_1 src1_sel:DWORD
	v_sub_u16_e32 v29, v12, v29
	s_waitcnt lgkmcnt(13)
	v_lshrrev_b32_e32 v86, 16, v46
	s_waitcnt lgkmcnt(1)
	v_lshrrev_b32_e32 v41, 16, v42
	v_and_b32_e32 v29, 0xff, v29
	v_lshrrev_b32_e32 v90, 16, v63
	v_lshrrev_b32_e32 v91, 16, v45
	;; [unrolled: 1-line block ×22, first 2 shown]
	s_movk_i32 s3, 0x2b26
	s_mov_b32 s2, 0xbb00
	s_mov_b32 s6, 0xbcab
	s_movk_i32 s7, 0x39e0
	s_mov_b32 s14, 0xb574
	s_movk_i32 s15, 0x3574
	s_mov_b32 s8, 0xb70e
	s_waitcnt vmcnt(3)
	v_mul_f16_sdwa v111, v85, v35 dst_sel:DWORD dst_unused:UNUSED_PAD src0_sel:DWORD src1_sel:WORD_1
	v_fma_f16 v111, v50, v35, v111
	v_mul_f16_sdwa v50, v50, v35 dst_sel:DWORD dst_unused:UNUSED_PAD src0_sel:DWORD src1_sel:WORD_1
	v_mul_f16_sdwa v32, v33, v41 dst_sel:DWORD dst_unused:UNUSED_PAD src0_sel:WORD_1 src1_sel:DWORD
	v_fma_f16 v50, v85, v35, -v50
	v_mul_f16_sdwa v85, v86, v36 dst_sel:DWORD dst_unused:UNUSED_PAD src0_sel:DWORD src1_sel:WORD_1
	v_fma_f16 v112, v33, v42, v32
	v_mul_u32_u24_e32 v32, 6, v29
	v_fma_f16 v113, v46, v36, v85
	v_mul_f16_sdwa v46, v46, v36 dst_sel:DWORD dst_unused:UNUSED_PAD src0_sel:DWORD src1_sel:WORD_1
	v_mul_f16_sdwa v85, v63, v33 dst_sel:DWORD dst_unused:UNUSED_PAD src0_sel:DWORD src1_sel:WORD_1
	v_mul_f16_sdwa v108, v33, v42 dst_sel:DWORD dst_unused:UNUSED_PAD src0_sel:WORD_1 src1_sel:DWORD
	v_mul_f16_sdwa v109, v34, v43 dst_sel:DWORD dst_unused:UNUSED_PAD src0_sel:WORD_1 src1_sel:DWORD
	;; [unrolled: 1-line block ×3, first 2 shown]
	v_lshlrev_b32_e32 v32, 2, v32
	v_fma_f16 v114, v86, v36, -v46
	v_mul_f16_sdwa v46, v90, v33 dst_sel:DWORD dst_unused:UNUSED_PAD src0_sel:DWORD src1_sel:WORD_1
	v_fma_f16 v90, v90, v33, -v85
	v_mul_f16_sdwa v85, v91, v34 dst_sel:DWORD dst_unused:UNUSED_PAD src0_sel:DWORD src1_sel:WORD_1
	v_fma_f16 v108, v33, v41, -v108
	v_fma_f16 v109, v34, v44, v109
	v_fma_f16 v110, v34, v43, -v110
	global_load_dwordx4 v[41:44], v32, s[12:13] offset:208
	v_fma_f16 v115, v45, v34, v85
	global_load_dwordx2 v[85:86], v32, s[12:13] offset:224
	v_lshrrev_b16_e32 v32, 3, v14
	v_mul_u32_u24_e32 v32, 0x2493, v32
	v_mul_lo_u16_sdwa v32, v32, v48 dst_sel:DWORD dst_unused:UNUSED_PAD src0_sel:WORD_1 src1_sel:DWORD
	v_mul_f16_sdwa v45, v45, v34 dst_sel:DWORD dst_unused:UNUSED_PAD src0_sel:DWORD src1_sel:WORD_1
	v_sub_u16_e32 v32, v14, v32
	v_fma_f16 v91, v91, v34, -v45
	v_mul_u32_u24_e32 v45, 6, v32
	v_mul_f16_sdwa v34, v93, v36 dst_sel:DWORD dst_unused:UNUSED_PAD src0_sel:DWORD src1_sel:WORD_1
	v_lshlrev_b32_e32 v117, 2, v45
	v_fma_f16 v116, v47, v36, v34
	v_mul_f16_sdwa v34, v47, v36 dst_sel:DWORD dst_unused:UNUSED_PAD src0_sel:DWORD src1_sel:WORD_1
	v_fma_f16 v63, v63, v33, v46
	global_load_dwordx4 v[45:48], v117, s[12:13] offset:208
	v_mul_f16_sdwa v33, v65, v35 dst_sel:DWORD dst_unused:UNUSED_PAD src0_sel:DWORD src1_sel:WORD_1
	v_fma_f16 v36, v93, v36, -v34
	v_fma_f16 v93, v92, v35, -v33
	v_mul_f16_sdwa v33, v92, v35 dst_sel:DWORD dst_unused:UNUSED_PAD src0_sel:DWORD src1_sel:WORD_1
	v_fma_f16 v35, v65, v35, v33
	s_waitcnt vmcnt(5)
	v_mul_f16_sdwa v33, v96, v37 dst_sel:DWORD dst_unused:UNUSED_PAD src0_sel:DWORD src1_sel:WORD_1
	v_fma_f16 v119, v64, v37, v33
	v_mul_f16_sdwa v33, v64, v37 dst_sel:DWORD dst_unused:UNUSED_PAD src0_sel:DWORD src1_sel:WORD_1
	v_fma_f16 v37, v96, v37, -v33
	v_mul_f16_sdwa v33, v98, v39 dst_sel:DWORD dst_unused:UNUSED_PAD src0_sel:DWORD src1_sel:WORD_1
	v_fma_f16 v64, v66, v39, v33
	global_load_dwordx2 v[33:34], v117, s[12:13] offset:224
	v_mul_f16_sdwa v96, v69, v38 dst_sel:DWORD dst_unused:UNUSED_PAD src0_sel:DWORD src1_sel:WORD_1
	v_fma_f16 v96, v97, v38, -v96
	v_mul_f16_sdwa v97, v97, v38 dst_sel:DWORD dst_unused:UNUSED_PAD src0_sel:DWORD src1_sel:WORD_1
	v_fma_f16 v38, v69, v38, v97
	s_waitcnt vmcnt(5)
	v_mul_f16_sdwa v97, v89, v82 dst_sel:DWORD dst_unused:UNUSED_PAD src0_sel:DWORD src1_sel:WORD_1
	v_mul_f16_sdwa v66, v66, v39 dst_sel:DWORD dst_unused:UNUSED_PAD src0_sel:DWORD src1_sel:WORD_1
	v_fma_f16 v97, v61, v82, v97
	v_mul_f16_sdwa v61, v61, v82 dst_sel:DWORD dst_unused:UNUSED_PAD src0_sel:DWORD src1_sel:WORD_1
	v_fma_f16 v39, v98, v39, -v66
	v_fma_f16 v61, v89, v82, -v61
	v_mul_f16_sdwa v89, v95, v82 dst_sel:DWORD dst_unused:UNUSED_PAD src0_sel:DWORD src1_sel:WORD_1
	v_mul_f16_sdwa v98, v52, v81 dst_sel:DWORD dst_unused:UNUSED_PAD src0_sel:DWORD src1_sel:WORD_1
	v_fma_f16 v89, v62, v82, v89
	v_mul_f16_sdwa v62, v62, v82 dst_sel:DWORD dst_unused:UNUSED_PAD src0_sel:DWORD src1_sel:WORD_1
	v_fma_f16 v98, v88, v81, -v98
	v_mul_f16_sdwa v88, v88, v81 dst_sel:DWORD dst_unused:UNUSED_PAD src0_sel:DWORD src1_sel:WORD_1
	v_fma_f16 v52, v52, v81, v88
	v_fma_f16 v62, v95, v82, -v62
	v_mul_f16_sdwa v82, v67, v81 dst_sel:DWORD dst_unused:UNUSED_PAD src0_sel:DWORD src1_sel:WORD_1
	v_mul_f16_sdwa v88, v94, v81 dst_sel:DWORD dst_unused:UNUSED_PAD src0_sel:DWORD src1_sel:WORD_1
	;; [unrolled: 1-line block ×3, first 2 shown]
	v_fma_f16 v82, v94, v81, -v82
	v_fma_f16 v67, v67, v81, v88
	s_waitcnt vmcnt(4)
	v_mul_f16_sdwa v81, v100, v83 dst_sel:DWORD dst_unused:UNUSED_PAD src0_sel:DWORD src1_sel:WORD_1
	v_fma_f16 v66, v99, v40, -v66
	v_mul_f16_sdwa v69, v99, v40 dst_sel:DWORD dst_unused:UNUSED_PAD src0_sel:DWORD src1_sel:WORD_1
	v_fma_f16 v81, v68, v83, v81
	v_mul_f16_sdwa v68, v68, v83 dst_sel:DWORD dst_unused:UNUSED_PAD src0_sel:DWORD src1_sel:WORD_1
	v_mul_f16_sdwa v99, v101, v84 dst_sel:DWORD dst_unused:UNUSED_PAD src0_sel:DWORD src1_sel:WORD_1
	v_fma_f16 v68, v100, v83, -v68
	v_mul_f16_sdwa v83, v73, v84 dst_sel:DWORD dst_unused:UNUSED_PAD src0_sel:DWORD src1_sel:WORD_1
	v_fma_f16 v73, v73, v84, v99
	v_fma_f16 v83, v101, v84, -v83
	v_lshrrev_b32_e32 v65, 16, v76
	v_lshrrev_b32_e32 v92, 16, v49
	ds_read_b32 v88, v56
	ds_read_b32 v94, v57
	ds_read_b32 v95, v53 offset:7616
	v_fma_f16 v40, v71, v40, v69
	v_lshrrev_b32_e32 v69, 16, v51
	v_lshrrev_b32_e32 v71, 16, v80
	s_waitcnt lgkmcnt(0)
	v_lshrrev_b32_e32 v84, 16, v95
	; wave barrier
	s_waitcnt vmcnt(3)
	v_mul_f16_sdwa v99, v103, v42 dst_sel:DWORD dst_unused:UNUSED_PAD src0_sel:DWORD src1_sel:WORD_1
	v_fma_f16 v99, v70, v42, v99
	v_mul_f16_sdwa v70, v70, v42 dst_sel:DWORD dst_unused:UNUSED_PAD src0_sel:DWORD src1_sel:WORD_1
	v_mul_f16_sdwa v100, v75, v41 dst_sel:DWORD dst_unused:UNUSED_PAD src0_sel:DWORD src1_sel:WORD_1
	;; [unrolled: 1-line block ×3, first 2 shown]
	v_fma_f16 v42, v103, v42, -v70
	v_mul_f16_sdwa v70, v105, v44 dst_sel:DWORD dst_unused:UNUSED_PAD src0_sel:DWORD src1_sel:WORD_1
	v_fma_f16 v100, v102, v41, -v100
	v_fma_f16 v41, v75, v41, v101
	v_fma_f16 v70, v72, v44, v70
	v_mul_f16_sdwa v72, v72, v44 dst_sel:DWORD dst_unused:UNUSED_PAD src0_sel:DWORD src1_sel:WORD_1
	v_mul_f16_sdwa v75, v77, v43 dst_sel:DWORD dst_unused:UNUSED_PAD src0_sel:DWORD src1_sel:WORD_1
	;; [unrolled: 1-line block ×3, first 2 shown]
	v_fma_f16 v75, v104, v43, -v75
	v_fma_f16 v43, v77, v43, v101
	v_fma_f16 v44, v105, v44, -v72
	s_waitcnt vmcnt(2)
	v_mul_f16_sdwa v72, v106, v85 dst_sel:DWORD dst_unused:UNUSED_PAD src0_sel:DWORD src1_sel:WORD_1
	v_mul_f16_sdwa v77, v79, v85 dst_sel:DWORD dst_unused:UNUSED_PAD src0_sel:DWORD src1_sel:WORD_1
	v_fma_f16 v72, v79, v85, v72
	v_fma_f16 v77, v106, v85, -v77
	s_waitcnt vmcnt(1)
	v_mul_f16_sdwa v85, v65, v45 dst_sel:DWORD dst_unused:UNUSED_PAD src0_sel:DWORD src1_sel:WORD_1
	v_fma_f16 v85, v76, v45, v85
	v_mul_f16_sdwa v76, v76, v45 dst_sel:DWORD dst_unused:UNUSED_PAD src0_sel:DWORD src1_sel:WORD_1
	v_fma_f16 v45, v65, v45, -v76
	v_mul_f16_sdwa v65, v92, v46 dst_sel:DWORD dst_unused:UNUSED_PAD src0_sel:DWORD src1_sel:WORD_1
	v_fma_f16 v65, v49, v46, v65
	v_mul_f16_sdwa v49, v49, v46 dst_sel:DWORD dst_unused:UNUSED_PAD src0_sel:DWORD src1_sel:WORD_1
	v_fma_f16 v46, v92, v46, -v49
	v_mul_f16_sdwa v49, v118, v47 dst_sel:DWORD dst_unused:UNUSED_PAD src0_sel:DWORD src1_sel:WORD_1
	v_mul_f16_sdwa v76, v78, v47 dst_sel:DWORD dst_unused:UNUSED_PAD src0_sel:DWORD src1_sel:WORD_1
	v_fma_f16 v49, v78, v47, v49
	v_fma_f16 v47, v118, v47, -v76
	v_mul_f16_sdwa v76, v69, v48 dst_sel:DWORD dst_unused:UNUSED_PAD src0_sel:DWORD src1_sel:WORD_1
	v_fma_f16 v76, v51, v48, v76
	v_mul_f16_sdwa v51, v51, v48 dst_sel:DWORD dst_unused:UNUSED_PAD src0_sel:DWORD src1_sel:WORD_1
	v_mul_f16_sdwa v79, v107, v86 dst_sel:DWORD dst_unused:UNUSED_PAD src0_sel:DWORD src1_sel:WORD_1
	v_fma_f16 v48, v69, v48, -v51
	s_waitcnt vmcnt(0)
	v_mul_f16_sdwa v51, v71, v33 dst_sel:DWORD dst_unused:UNUSED_PAD src0_sel:DWORD src1_sel:WORD_1
	v_mul_f16_sdwa v69, v80, v33 dst_sel:DWORD dst_unused:UNUSED_PAD src0_sel:DWORD src1_sel:WORD_1
	v_fma_f16 v79, v74, v86, v79
	v_mul_f16_sdwa v74, v74, v86 dst_sel:DWORD dst_unused:UNUSED_PAD src0_sel:DWORD src1_sel:WORD_1
	v_fma_f16 v51, v80, v33, v51
	v_fma_f16 v33, v71, v33, -v69
	v_mul_f16_sdwa v69, v84, v34 dst_sel:DWORD dst_unused:UNUSED_PAD src0_sel:DWORD src1_sel:WORD_1
	v_mul_f16_sdwa v71, v95, v34 dst_sel:DWORD dst_unused:UNUSED_PAD src0_sel:DWORD src1_sel:WORD_1
	v_fma_f16 v74, v107, v86, -v74
	v_fma_f16 v69, v95, v34, v69
	v_fma_f16 v34, v84, v34, -v71
	v_add_f16_e32 v71, v112, v97
	v_add_f16_e32 v78, v108, v61
	;; [unrolled: 1-line block ×4, first 2 shown]
	v_sub_f16_e32 v80, v112, v97
	v_sub_f16_e32 v61, v108, v61
	;; [unrolled: 1-line block ×4, first 2 shown]
	v_add_f16_e32 v95, v111, v113
	v_add_f16_e32 v97, v50, v114
	v_sub_f16_e32 v98, v113, v111
	v_sub_f16_e32 v50, v114, v50
	v_add_f16_e32 v101, v84, v71
	v_add_f16_e32 v102, v86, v78
	v_sub_f16_e32 v103, v84, v71
	v_sub_f16_e32 v104, v86, v78
	;; [unrolled: 1-line block ×6, first 2 shown]
	v_add_f16_e32 v105, v98, v52
	v_add_f16_e32 v106, v50, v92
	v_sub_f16_e32 v107, v98, v52
	v_sub_f16_e32 v108, v50, v92
	;; [unrolled: 1-line block ×4, first 2 shown]
	v_add_f16_e32 v95, v95, v101
	v_add_f16_e32 v97, v97, v102
	v_sub_f16_e32 v98, v80, v98
	v_sub_f16_e32 v50, v61, v50
	v_add_f16_e32 v80, v105, v80
	v_add_f16_e32 v61, v106, v61
	;; [unrolled: 1-line block ×3, first 2 shown]
	v_add_f16_sdwa v87, v87, v97 dst_sel:DWORD dst_unused:UNUSED_PAD src0_sel:WORD_1 src1_sel:DWORD
	v_mul_f16_e32 v71, 0x3a52, v71
	v_mul_f16_e32 v78, 0x3a52, v78
	;; [unrolled: 1-line block ×8, first 2 shown]
	v_fma_f16 v95, v95, s6, v101
	v_fma_f16 v97, v97, s6, v87
	;; [unrolled: 1-line block ×4, first 2 shown]
	v_fma_f16 v102, v103, s7, -v102
	v_fma_f16 v105, v104, s7, -v105
	;; [unrolled: 1-line block ×4, first 2 shown]
	v_fma_f16 v103, v98, s14, v106
	v_fma_f16 v104, v50, s14, v107
	v_fma_f16 v52, v52, s2, -v106
	v_fma_f16 v98, v98, s15, -v108
	;; [unrolled: 1-line block ×4, first 2 shown]
	v_add_f16_e32 v84, v84, v95
	v_add_f16_e32 v86, v86, v97
	;; [unrolled: 1-line block ×6, first 2 shown]
	v_fma_f16 v95, v80, s8, v103
	v_fma_f16 v97, v61, s8, v104
	;; [unrolled: 1-line block ×6, first 2 shown]
	v_add_f16_e32 v61, v97, v84
	v_sub_f16_e32 v98, v86, v95
	v_add_f16_e32 v103, v50, v71
	v_sub_f16_e32 v104, v78, v80
	v_sub_f16_e32 v50, v71, v50
	v_add_f16_e32 v71, v80, v78
	v_sub_f16_e32 v78, v84, v97
	v_add_f16_e32 v80, v95, v86
	v_add_f16_e32 v84, v63, v89
	;; [unrolled: 1-line block ×3, first 2 shown]
	v_sub_f16_e32 v63, v63, v89
	v_sub_f16_e32 v62, v90, v62
	v_add_f16_e32 v89, v115, v67
	v_add_f16_e32 v90, v91, v82
	v_sub_f16_e32 v67, v115, v67
	v_sub_f16_e32 v82, v91, v82
	v_add_f16_e32 v91, v35, v116
	v_add_f16_e32 v95, v93, v36
	;; [unrolled: 4-line block ×3, first 2 shown]
	v_sub_f16_e32 v106, v102, v92
	v_add_f16_e32 v107, v52, v105
	v_add_f16_e32 v92, v92, v102
	v_sub_f16_e32 v52, v105, v52
	v_sub_f16_e32 v102, v89, v84
	;; [unrolled: 1-line block ×7, first 2 shown]
	v_add_f16_e32 v108, v35, v67
	v_add_f16_e32 v109, v36, v82
	v_sub_f16_e32 v110, v35, v67
	v_sub_f16_e32 v111, v36, v82
	;; [unrolled: 1-line block ×4, first 2 shown]
	v_add_f16_e32 v91, v91, v93
	v_add_f16_e32 v93, v95, v97
	v_sub_f16_e32 v35, v63, v35
	v_sub_f16_e32 v36, v62, v36
	v_add_f16_e32 v63, v108, v63
	v_add_f16_e32 v62, v109, v62
	;; [unrolled: 1-line block ×3, first 2 shown]
	v_add_f16_sdwa v94, v94, v93 dst_sel:DWORD dst_unused:UNUSED_PAD src0_sel:WORD_1 src1_sel:DWORD
	v_mul_f16_e32 v84, 0x3a52, v84
	v_mul_f16_e32 v86, 0x3a52, v86
	;; [unrolled: 1-line block ×8, first 2 shown]
	v_fma_f16 v91, v91, s6, v95
	v_fma_f16 v93, v93, s6, v94
	;; [unrolled: 1-line block ×4, first 2 shown]
	v_fma_f16 v97, v102, s7, -v97
	v_fma_f16 v108, v105, s7, -v108
	;; [unrolled: 1-line block ×4, first 2 shown]
	v_fma_f16 v102, v35, s14, v109
	v_fma_f16 v105, v36, s14, v110
	v_fma_f16 v35, v35, s15, -v111
	v_fma_f16 v36, v36, s15, -v112
	;; [unrolled: 1-line block ×4, first 2 shown]
	v_add_f16_e32 v89, v89, v91
	v_add_f16_e32 v90, v90, v93
	v_add_f16_e32 v97, v97, v91
	v_add_f16_e32 v108, v108, v93
	v_add_f16_e32 v84, v84, v91
	v_add_f16_e32 v86, v86, v93
	v_fma_f16 v91, v63, s8, v102
	v_fma_f16 v93, v62, s8, v105
	;; [unrolled: 1-line block ×6, first 2 shown]
	v_add_f16_e32 v62, v93, v89
	v_sub_f16_e32 v63, v90, v91
	v_add_f16_e32 v102, v36, v84
	v_sub_f16_e32 v105, v86, v35
	v_sub_f16_e32 v36, v84, v36
	v_add_f16_e32 v35, v35, v86
	v_sub_f16_e32 v84, v89, v93
	v_add_f16_e32 v86, v91, v90
	v_add_f16_e32 v89, v119, v73
	;; [unrolled: 1-line block ×3, first 2 shown]
	v_sub_f16_e32 v37, v37, v83
	v_add_f16_e32 v83, v38, v81
	v_add_f16_e32 v91, v96, v68
	v_sub_f16_e32 v73, v119, v73
	v_sub_f16_e32 v38, v38, v81
	;; [unrolled: 1-line block ×3, first 2 shown]
	v_add_f16_e32 v81, v64, v40
	v_add_f16_e32 v93, v39, v66
	v_sub_f16_e32 v40, v40, v64
	v_sub_f16_e32 v39, v66, v39
	v_add_f16_e32 v64, v83, v89
	v_add_f16_e32 v66, v91, v90
	v_sub_f16_e32 v109, v97, v82
	v_add_f16_e32 v110, v67, v108
	v_add_f16_e32 v82, v82, v97
	v_sub_f16_e32 v67, v108, v67
	v_sub_f16_e32 v96, v83, v89
	;; [unrolled: 1-line block ×7, first 2 shown]
	v_add_f16_e32 v108, v40, v38
	v_add_f16_e32 v111, v39, v68
	v_sub_f16_e32 v112, v40, v38
	v_sub_f16_e32 v113, v39, v68
	;; [unrolled: 1-line block ×4, first 2 shown]
	v_add_f16_e32 v64, v81, v64
	v_add_f16_e32 v66, v93, v66
	v_sub_f16_e32 v40, v73, v40
	v_sub_f16_e32 v39, v37, v39
	v_add_f16_e32 v73, v108, v73
	v_add_f16_e32 v37, v111, v37
	;; [unrolled: 1-line block ×3, first 2 shown]
	v_add_f16_sdwa v88, v88, v66 dst_sel:DWORD dst_unused:UNUSED_PAD src0_sel:WORD_1 src1_sel:DWORD
	v_mul_f16_e32 v89, 0x3a52, v89
	v_mul_f16_e32 v90, 0x3a52, v90
	;; [unrolled: 1-line block ×8, first 2 shown]
	v_fma_f16 v64, v64, s6, v81
	v_fma_f16 v66, v66, s6, v88
	;; [unrolled: 1-line block ×4, first 2 shown]
	v_fma_f16 v93, v96, s7, -v93
	v_fma_f16 v108, v97, s7, -v108
	;; [unrolled: 1-line block ×4, first 2 shown]
	v_fma_f16 v96, v40, s14, v111
	v_fma_f16 v97, v39, s14, v112
	v_fma_f16 v68, v68, s2, -v112
	v_fma_f16 v40, v40, s15, -v113
	v_fma_f16 v39, v39, s15, -v114
	v_fma_f16 v38, v38, s2, -v111
	v_add_f16_e32 v83, v83, v64
	v_add_f16_e32 v91, v91, v66
	;; [unrolled: 1-line block ×6, first 2 shown]
	v_fma_f16 v89, v73, s8, v96
	v_fma_f16 v90, v37, s8, v97
	;; [unrolled: 1-line block ×6, first 2 shown]
	v_add_f16_e32 v39, v90, v83
	v_sub_f16_e32 v73, v91, v89
	v_add_f16_e32 v96, v37, v64
	v_sub_f16_e32 v97, v66, v40
	v_sub_f16_e32 v37, v64, v37
	v_add_f16_e32 v40, v40, v66
	v_sub_f16_e32 v64, v83, v90
	v_add_f16_e32 v66, v89, v91
	v_add_f16_e32 v83, v41, v79
	;; [unrolled: 1-line block ×3, first 2 shown]
	v_sub_f16_e32 v41, v41, v79
	v_add_f16_e32 v79, v99, v72
	v_add_f16_e32 v90, v42, v77
	v_sub_f16_e32 v74, v100, v74
	v_sub_f16_e32 v72, v99, v72
	;; [unrolled: 1-line block ×3, first 2 shown]
	v_add_f16_e32 v77, v43, v70
	v_add_f16_e32 v91, v75, v44
	v_sub_f16_e32 v43, v70, v43
	v_sub_f16_e32 v44, v44, v75
	v_add_f16_e32 v70, v79, v83
	v_add_f16_e32 v75, v90, v89
	v_sub_f16_e32 v111, v93, v68
	v_add_f16_e32 v112, v38, v108
	v_add_f16_e32 v68, v68, v93
	v_sub_f16_e32 v38, v108, v38
	v_sub_f16_e32 v93, v79, v83
	;; [unrolled: 1-line block ×7, first 2 shown]
	v_add_f16_e32 v100, v43, v72
	v_add_f16_e32 v108, v44, v42
	v_sub_f16_e32 v113, v43, v72
	v_sub_f16_e32 v114, v44, v42
	;; [unrolled: 1-line block ×4, first 2 shown]
	v_add_f16_e32 v70, v77, v70
	v_add_f16_e32 v75, v91, v75
	v_sub_f16_e32 v43, v41, v43
	v_sub_f16_e32 v44, v74, v44
	v_add_f16_e32 v41, v100, v41
	v_add_f16_e32 v74, v108, v74
	;; [unrolled: 1-line block ×3, first 2 shown]
	v_add_f16_sdwa v21, v21, v75 dst_sel:DWORD dst_unused:UNUSED_PAD src0_sel:WORD_1 src1_sel:DWORD
	v_mul_f16_e32 v83, 0x3a52, v83
	v_mul_f16_e32 v89, 0x3a52, v89
	;; [unrolled: 1-line block ×8, first 2 shown]
	v_fma_f16 v70, v70, s6, v77
	v_fma_f16 v75, v75, s6, v21
	;; [unrolled: 1-line block ×4, first 2 shown]
	v_fma_f16 v91, v93, s7, -v91
	v_fma_f16 v100, v99, s7, -v100
	;; [unrolled: 1-line block ×4, first 2 shown]
	v_fma_f16 v93, v43, s14, v108
	v_fma_f16 v99, v44, s14, v113
	v_fma_f16 v72, v72, s2, -v108
	v_fma_f16 v43, v43, s15, -v114
	;; [unrolled: 1-line block ×4, first 2 shown]
	v_add_f16_e32 v79, v79, v70
	v_add_f16_e32 v90, v90, v75
	;; [unrolled: 1-line block ×6, first 2 shown]
	v_fma_f16 v83, v41, s8, v93
	v_fma_f16 v89, v74, s8, v99
	;; [unrolled: 1-line block ×6, first 2 shown]
	v_add_f16_e32 v44, v89, v79
	v_sub_f16_e32 v74, v90, v83
	v_add_f16_e32 v93, v43, v70
	v_sub_f16_e32 v99, v75, v41
	v_sub_f16_e32 v43, v70, v43
	v_add_f16_e32 v41, v41, v75
	v_sub_f16_e32 v70, v79, v89
	v_add_f16_e32 v75, v83, v90
	v_add_f16_e32 v79, v85, v69
	;; [unrolled: 1-line block ×3, first 2 shown]
	v_sub_f16_e32 v69, v85, v69
	v_sub_f16_e32 v34, v45, v34
	v_add_f16_e32 v45, v65, v51
	v_add_f16_e32 v85, v46, v33
	v_sub_f16_e32 v51, v65, v51
	v_sub_f16_e32 v33, v46, v33
	v_add_f16_e32 v46, v49, v76
	v_add_f16_e32 v65, v47, v48
	;; [unrolled: 4-line block ×3, first 2 shown]
	v_sub_f16_e32 v108, v91, v42
	v_add_f16_e32 v113, v72, v100
	v_add_f16_e32 v42, v42, v91
	v_sub_f16_e32 v72, v100, v72
	v_sub_f16_e32 v89, v45, v79
	;; [unrolled: 1-line block ×7, first 2 shown]
	v_add_f16_e32 v91, v49, v51
	v_add_f16_e32 v100, v47, v33
	v_sub_f16_e32 v114, v49, v51
	v_sub_f16_e32 v115, v47, v33
	;; [unrolled: 1-line block ×4, first 2 shown]
	v_add_f16_e32 v46, v46, v48
	v_add_f16_e32 v48, v65, v76
	v_sub_f16_e32 v49, v69, v49
	v_sub_f16_e32 v47, v34, v47
	v_add_f16_e32 v65, v91, v69
	v_add_f16_e32 v34, v100, v34
	;; [unrolled: 1-line block ×3, first 2 shown]
	v_add_f16_sdwa v31, v31, v48 dst_sel:DWORD dst_unused:UNUSED_PAD src0_sel:WORD_1 src1_sel:DWORD
	v_mul_f16_e32 v76, 0x3a52, v79
	v_mul_f16_e32 v79, 0x3a52, v83
	;; [unrolled: 1-line block ×8, first 2 shown]
	v_fma_f16 v46, v46, s6, v69
	v_fma_f16 v48, v48, s6, v31
	;; [unrolled: 1-line block ×4, first 2 shown]
	v_fma_f16 v83, v89, s7, -v83
	v_fma_f16 v91, v90, s7, -v91
	;; [unrolled: 1-line block ×4, first 2 shown]
	v_fma_f16 v89, v49, s14, v100
	v_fma_f16 v90, v47, s14, v114
	v_fma_f16 v33, v33, s2, -v114
	v_fma_f16 v49, v49, s15, -v115
	;; [unrolled: 1-line block ×3, first 2 shown]
	v_add_f16_e32 v45, v45, v46
	v_add_f16_e32 v85, v85, v48
	;; [unrolled: 1-line block ×6, first 2 shown]
	v_fma_f16 v79, v34, s8, v90
	v_fma_f16 v33, v34, s8, v33
	;; [unrolled: 1-line block ×5, first 2 shown]
	v_add_f16_e32 v89, v34, v46
	v_sub_f16_e32 v90, v48, v49
	v_sub_f16_e32 v34, v46, v34
	v_add_f16_e32 v46, v49, v48
	v_pack_b32_f16 v49, v101, v87
	v_pack_b32_f16 v61, v61, v98
	ds_write2_b32 v53, v49, v61 offset1:56
	v_pack_b32_f16 v49, v103, v104
	v_pack_b32_f16 v61, v106, v107
	ds_write2_b32 v53, v49, v61 offset0:112 offset1:168
	v_pack_b32_f16 v49, v92, v52
	v_pack_b32_f16 v50, v50, v71
	v_add_u32_e32 v52, 0x200, v53
	ds_write2_b32 v52, v49, v50 offset0:96 offset1:152
	v_pack_b32_f16 v49, v78, v80
	v_pack_b32_f16 v50, v95, v94
	ds_write2_b32 v0, v49, v50 offset0:80 offset1:136
	v_pack_b32_f16 v0, v62, v63
	ds_write_b32 v58, v0
	v_pack_b32_f16 v0, v102, v105
	v_pack_b32_f16 v49, v109, v110
	v_add_u32_e32 v50, 0x600, v53
	ds_write2_b32 v50, v0, v49 offset0:120 offset1:176
	v_pack_b32_f16 v0, v82, v67
	v_pack_b32_f16 v35, v36, v35
	ds_write2_b32 v11, v0, v35 offset0:104 offset1:160
	v_pack_b32_f16 v0, v84, v86
	ds_write_b32 v53, v0 offset:2912
	v_lshl_add_u32 v0, v19, 2, 0
	v_pack_b32_f16 v19, v81, v88
	v_pack_b32_f16 v35, v39, v73
	v_add_u32_e32 v36, 0xc00, v0
	ds_write2_b32 v36, v19, v35 offset0:16 offset1:72
	v_pack_b32_f16 v19, v96, v97
	v_pack_b32_f16 v35, v111, v112
	ds_write2_b32 v36, v19, v35 offset0:128 offset1:184
	v_pack_b32_f16 v19, v68, v38
	v_pack_b32_f16 v35, v37, v40
	v_add_u32_e32 v36, 0xe00, v0
	ds_write2_b32 v36, v19, v35 offset0:112 offset1:168
	v_pack_b32_f16 v19, v64, v66
	ds_write_b32 v0, v19 offset:4480
	v_lshl_add_u32 v0, v29, 2, 0
	v_pack_b32_f16 v19, v77, v21
	v_pack_b32_f16 v21, v44, v74
	v_add_u32_e32 v29, 0x1000, v0
	ds_write2_b32 v29, v19, v21 offset0:152 offset1:208
	v_pack_b32_f16 v19, v93, v99
	v_pack_b32_f16 v21, v108, v113
	v_add_u32_e32 v29, 0x1400, v0
	ds_write2_b32 v29, v19, v21 offset0:8 offset1:64
	v_pack_b32_f16 v19, v42, v72
	v_pack_b32_f16 v21, v43, v41
	v_fma_f16 v51, v51, s2, -v100
	ds_write2_b32 v29, v19, v21 offset0:120 offset1:176
	v_pack_b32_f16 v19, v70, v75
	v_fma_f16 v51, v65, s8, v51
	v_add_f16_e32 v47, v79, v45
	v_sub_f16_e32 v65, v85, v76
	ds_write_b32 v0, v19 offset:6048
	v_lshl_add_u32 v0, v32, 2, 0
	v_sub_f16_e32 v100, v83, v33
	v_add_f16_e32 v114, v51, v91
	v_pack_b32_f16 v19, v69, v31
	v_pack_b32_f16 v21, v47, v65
	v_add_u32_e32 v29, 0x1800, v0
	v_add_f16_e32 v33, v33, v83
	v_sub_f16_e32 v51, v91, v51
	ds_write2_b32 v29, v19, v21 offset0:32 offset1:88
	v_pack_b32_f16 v19, v89, v90
	v_pack_b32_f16 v21, v100, v114
	v_sub_f16_e32 v45, v45, v79
	v_add_f16_e32 v48, v76, v85
	ds_write2_b32 v29, v19, v21 offset0:144 offset1:200
	v_pack_b32_f16 v19, v33, v51
	v_pack_b32_f16 v21, v34, v46
	v_add_u32_e32 v29, 0x1c00, v0
	ds_write2_b32 v29, v19, v21 offset1:56
	v_pack_b32_f16 v19, v45, v48
	ds_write_b32 v0, v19 offset:7616
	v_lshlrev_b32_e32 v0, 2, v4
	v_lshlrev_b64 v[31:32], 2, v[0:1]
	v_mov_b32_e32 v89, s13
	v_add_co_u32_e64 v31, s[2:3], s12, v31
	v_add_u32_e32 v19, 0xa00, v53
	v_addc_co_u32_e64 v32, s[2:3], v89, v32, s[2:3]
	s_waitcnt lgkmcnt(0)
	; wave barrier
	s_waitcnt lgkmcnt(0)
	ds_read2st64_b32 v[61:62], v53 offset1:7
	ds_read2_b32 v[63:64], v19 offset0:88 offset1:144
	ds_read2_b32 v[65:66], v3 offset0:152 offset1:208
	global_load_dwordx4 v[32:35], v[31:32], off offset:1552
	v_mov_b32_e32 v29, v1
	v_lshlrev_b64 v[28:29], 2, v[28:29]
	v_add_u32_e32 v19, 0x1600, v53
	v_add_co_u32_e64 v28, s[2:3], s12, v28
	v_addc_co_u32_e64 v29, s[2:3], v89, v29, s[2:3]
	ds_read2_b32 v[67:68], v19 offset0:104 offset1:160
	ds_read2_b32 v[69:70], v15 offset0:72 offset1:128
	ds_read_b32 v92, v57
	ds_read_b32 v93, v56
	;; [unrolled: 1-line block ×7, first 2 shown]
	ds_read2_b32 v[71:72], v17 offset0:88 offset1:144
	ds_read2_b32 v[73:74], v50 offset0:120 offset1:176
	;; [unrolled: 1-line block ×3, first 2 shown]
	global_load_dwordx4 v[36:39], v[28:29], off offset:1552
	v_mov_b32_e32 v28, v1
	v_lshlrev_b64 v[27:28], 2, v[27:28]
	ds_read2_b32 v[77:78], v15 offset0:184 offset1:240
	v_add_co_u32_e64 v27, s[2:3], s12, v27
	v_add_u32_e32 v15, 0x1a00, v53
	v_addc_co_u32_e64 v28, s[2:3], v89, v28, s[2:3]
	ds_read2_b32 v[79:80], v15 offset0:72 offset1:128
	ds_read2_b32 v[81:82], v11 offset0:104 offset1:160
	;; [unrolled: 1-line block ×3, first 2 shown]
	global_load_dwordx4 v[40:43], v[27:28], off offset:1552
	v_mov_b32_e32 v27, v1
	v_lshlrev_b64 v[26:27], 2, v[26:27]
	ds_read2_b32 v[85:86], v3 offset0:40 offset1:96
	ds_read2_b32 v[87:88], v5 offset0:56 offset1:112
	v_add_co_u32_e64 v26, s[2:3], s12, v26
	v_addc_co_u32_e64 v27, s[2:3], v89, v27, s[2:3]
	global_load_dwordx4 v[44:47], v[26:27], off offset:1552
	v_mov_b32_e32 v26, v1
	v_lshlrev_b64 v[25:26], 2, v[25:26]
	s_waitcnt lgkmcnt(10)
	v_lshrrev_b32_e32 v3, 16, v48
	v_add_co_u32_e64 v25, s[2:3], s12, v25
	v_addc_co_u32_e64 v26, s[2:3], v89, v26, s[2:3]
	global_load_dwordx4 v[26:29], v[25:26], off offset:1552
	v_lshrrev_b32_e32 v90, 16, v65
	v_lshrrev_b32_e32 v91, 16, v68
	;; [unrolled: 1-line block ×5, first 2 shown]
	s_waitcnt lgkmcnt(8)
	v_lshrrev_b32_e32 v17, 16, v71
	s_waitcnt lgkmcnt(7)
	v_lshrrev_b32_e32 v100, 16, v73
	v_lshrrev_b32_e32 v101, 16, v70
	s_waitcnt lgkmcnt(6)
	v_lshrrev_b32_e32 v102, 16, v75
	v_lshrrev_b32_e32 v103, 16, v72
	;; [unrolled: 1-line block ×3, first 2 shown]
	s_waitcnt lgkmcnt(5)
	v_lshrrev_b32_e32 v105, 16, v77
	v_lshrrev_b32_e32 v106, 16, v76
	s_waitcnt lgkmcnt(4)
	v_lshrrev_b32_e32 v107, 16, v79
	s_waitcnt lgkmcnt(3)
	v_lshrrev_b32_e32 v108, 16, v81
	v_lshrrev_b32_e32 v109, 16, v78
	s_waitcnt lgkmcnt(2)
	v_lshrrev_b32_e32 v110, 16, v83
	v_lshrrev_b32_e32 v111, 16, v80
	;; [unrolled: 1-line block ×3, first 2 shown]
	s_waitcnt lgkmcnt(1)
	v_lshrrev_b32_e32 v113, 16, v85
	v_lshrrev_b32_e32 v114, 16, v84
	s_waitcnt lgkmcnt(0)
	v_lshrrev_b32_e32 v115, 16, v87
	v_lshrrev_b32_e32 v116, 16, v63
	;; [unrolled: 1-line block ×5, first 2 shown]
	s_movk_i32 s7, 0x3b9c
	s_movk_i32 s8, 0x38b4
	;; [unrolled: 1-line block ×3, first 2 shown]
	v_lshrrev_b32_e32 v52, 16, v61
	v_lshrrev_b32_e32 v95, 16, v92
	;; [unrolled: 1-line block ×7, first 2 shown]
	s_waitcnt vmcnt(4)
	v_mul_f16_sdwa v25, v32, v3 dst_sel:DWORD dst_unused:UNUSED_PAD src0_sel:WORD_1 src1_sel:DWORD
	v_fma_f16 v120, v32, v48, v25
	v_mul_f16_sdwa v25, v32, v48 dst_sel:DWORD dst_unused:UNUSED_PAD src0_sel:WORD_1 src1_sel:DWORD
	v_fma_f16 v121, v32, v3, -v25
	v_lshrrev_b32_e32 v3, 16, v64
	v_mul_f16_sdwa v25, v33, v3 dst_sel:DWORD dst_unused:UNUSED_PAD src0_sel:WORD_1 src1_sel:DWORD
	v_fma_f16 v122, v33, v64, v25
	v_mul_f16_sdwa v25, v33, v64 dst_sel:DWORD dst_unused:UNUSED_PAD src0_sel:WORD_1 src1_sel:DWORD
	v_fma_f16 v64, v33, v3, -v25
	v_mov_b32_e32 v25, v1
	v_lshlrev_b64 v[24:25], 2, v[24:25]
	v_mul_f16_sdwa v3, v90, v34 dst_sel:DWORD dst_unused:UNUSED_PAD src0_sel:DWORD src1_sel:WORD_1
	v_add_co_u32_e64 v24, s[2:3], s12, v24
	v_addc_co_u32_e64 v25, s[2:3], v89, v25, s[2:3]
	global_load_dwordx4 v[48:51], v[24:25], off offset:1552
	v_fma_f16 v24, v65, v34, v3
	v_mul_f16_sdwa v3, v65, v34 dst_sel:DWORD dst_unused:UNUSED_PAD src0_sel:DWORD src1_sel:WORD_1
	v_fma_f16 v25, v90, v34, -v3
	v_mul_f16_sdwa v3, v91, v35 dst_sel:DWORD dst_unused:UNUSED_PAD src0_sel:DWORD src1_sel:WORD_1
	v_fma_f16 v65, v68, v35, v3
	v_mul_f16_sdwa v3, v68, v35 dst_sel:DWORD dst_unused:UNUSED_PAD src0_sel:DWORD src1_sel:WORD_1
	v_fma_f16 v68, v91, v35, -v3
	v_mov_b32_e32 v3, v1
	v_lshlrev_b64 v[1:2], 2, v[2:3]
	s_waitcnt vmcnt(4)
	v_mul_f16_sdwa v90, v96, v36 dst_sel:DWORD dst_unused:UNUSED_PAD src0_sel:DWORD src1_sel:WORD_1
	v_add_co_u32_e64 v1, s[2:3], s12, v1
	v_addc_co_u32_e64 v2, s[2:3], v89, v2, s[2:3]
	global_load_dwordx4 v[32:35], v[1:2], off offset:1552
	v_mul_f16_sdwa v2, v62, v36 dst_sel:DWORD dst_unused:UNUSED_PAD src0_sel:DWORD src1_sel:WORD_1
	v_fma_f16 v1, v62, v36, v90
	v_fma_f16 v2, v96, v36, -v2
	v_mul_f16_sdwa v3, v97, v37 dst_sel:DWORD dst_unused:UNUSED_PAD src0_sel:DWORD src1_sel:WORD_1
	v_mul_f16_sdwa v36, v69, v37 dst_sel:DWORD dst_unused:UNUSED_PAD src0_sel:DWORD src1_sel:WORD_1
	v_fma_f16 v3, v69, v37, v3
	v_fma_f16 v36, v97, v37, -v36
	v_mul_f16_sdwa v37, v98, v38 dst_sel:DWORD dst_unused:UNUSED_PAD src0_sel:DWORD src1_sel:WORD_1
	v_mul_f16_sdwa v62, v66, v38 dst_sel:DWORD dst_unused:UNUSED_PAD src0_sel:DWORD src1_sel:WORD_1
	v_fma_f16 v37, v66, v38, v37
	v_fma_f16 v38, v98, v38, -v62
	v_mul_f16_sdwa v62, v17, v39 dst_sel:DWORD dst_unused:UNUSED_PAD src0_sel:DWORD src1_sel:WORD_1
	v_mul_f16_sdwa v66, v71, v39 dst_sel:DWORD dst_unused:UNUSED_PAD src0_sel:DWORD src1_sel:WORD_1
	v_fma_f16 v62, v71, v39, v62
	v_fma_f16 v17, v17, v39, -v66
	s_waitcnt vmcnt(4)
	v_mul_f16_sdwa v39, v100, v40 dst_sel:DWORD dst_unused:UNUSED_PAD src0_sel:DWORD src1_sel:WORD_1
	v_mul_f16_sdwa v66, v73, v40 dst_sel:DWORD dst_unused:UNUSED_PAD src0_sel:DWORD src1_sel:WORD_1
	v_fma_f16 v39, v73, v40, v39
	v_fma_f16 v40, v100, v40, -v66
	v_mul_f16_sdwa v66, v101, v41 dst_sel:DWORD dst_unused:UNUSED_PAD src0_sel:DWORD src1_sel:WORD_1
	v_mul_f16_sdwa v69, v70, v41 dst_sel:DWORD dst_unused:UNUSED_PAD src0_sel:DWORD src1_sel:WORD_1
	v_fma_f16 v66, v70, v41, v66
	v_fma_f16 v41, v101, v41, -v69
	v_mul_f16_sdwa v69, v102, v42 dst_sel:DWORD dst_unused:UNUSED_PAD src0_sel:DWORD src1_sel:WORD_1
	v_mul_f16_sdwa v70, v75, v42 dst_sel:DWORD dst_unused:UNUSED_PAD src0_sel:DWORD src1_sel:WORD_1
	v_fma_f16 v69, v75, v42, v69
	v_fma_f16 v42, v102, v42, -v70
	v_mul_f16_sdwa v70, v103, v43 dst_sel:DWORD dst_unused:UNUSED_PAD src0_sel:DWORD src1_sel:WORD_1
	v_mul_f16_sdwa v71, v72, v43 dst_sel:DWORD dst_unused:UNUSED_PAD src0_sel:DWORD src1_sel:WORD_1
	v_fma_f16 v70, v72, v43, v70
	v_fma_f16 v43, v103, v43, -v71
	s_waitcnt vmcnt(3)
	v_mul_f16_sdwa v71, v104, v44 dst_sel:DWORD dst_unused:UNUSED_PAD src0_sel:DWORD src1_sel:WORD_1
	;; [unrolled: 17-line block ×3, first 2 shown]
	v_mul_f16_sdwa v76, v81, v26 dst_sel:DWORD dst_unused:UNUSED_PAD src0_sel:DWORD src1_sel:WORD_1
	v_fma_f16 v75, v81, v26, v75
	v_fma_f16 v26, v108, v26, -v76
	v_mul_f16_sdwa v76, v109, v27 dst_sel:DWORD dst_unused:UNUSED_PAD src0_sel:DWORD src1_sel:WORD_1
	v_mul_f16_sdwa v77, v78, v27 dst_sel:DWORD dst_unused:UNUSED_PAD src0_sel:DWORD src1_sel:WORD_1
	v_fma_f16 v76, v78, v27, v76
	v_fma_f16 v27, v109, v27, -v77
	v_mul_f16_sdwa v77, v110, v28 dst_sel:DWORD dst_unused:UNUSED_PAD src0_sel:DWORD src1_sel:WORD_1
	v_mul_f16_sdwa v78, v83, v28 dst_sel:DWORD dst_unused:UNUSED_PAD src0_sel:DWORD src1_sel:WORD_1
	v_fma_f16 v77, v83, v28, v77
	v_fma_f16 v28, v110, v28, -v78
	v_mul_f16_sdwa v78, v111, v29 dst_sel:DWORD dst_unused:UNUSED_PAD src0_sel:DWORD src1_sel:WORD_1
	v_mul_f16_sdwa v79, v80, v29 dst_sel:DWORD dst_unused:UNUSED_PAD src0_sel:DWORD src1_sel:WORD_1
	v_fma_f16 v78, v80, v29, v78
	v_fma_f16 v29, v111, v29, -v79
	s_mov_b32 s3, 0xbb9c
	s_waitcnt vmcnt(1)
	v_mul_f16_sdwa v79, v112, v48 dst_sel:DWORD dst_unused:UNUSED_PAD src0_sel:DWORD src1_sel:WORD_1
	v_mul_f16_sdwa v80, v82, v48 dst_sel:DWORD dst_unused:UNUSED_PAD src0_sel:DWORD src1_sel:WORD_1
	v_fma_f16 v79, v82, v48, v79
	v_fma_f16 v48, v112, v48, -v80
	v_mul_f16_sdwa v80, v113, v49 dst_sel:DWORD dst_unused:UNUSED_PAD src0_sel:DWORD src1_sel:WORD_1
	v_mul_f16_sdwa v81, v85, v49 dst_sel:DWORD dst_unused:UNUSED_PAD src0_sel:DWORD src1_sel:WORD_1
	v_fma_f16 v80, v85, v49, v80
	v_fma_f16 v49, v113, v49, -v81
	;; [unrolled: 4-line block ×4, first 2 shown]
	s_waitcnt vmcnt(0)
	v_mul_f16_sdwa v83, v116, v32 dst_sel:DWORD dst_unused:UNUSED_PAD src0_sel:DWORD src1_sel:WORD_1
	v_fma_f16 v83, v63, v32, v83
	v_mul_f16_sdwa v63, v63, v32 dst_sel:DWORD dst_unused:UNUSED_PAD src0_sel:DWORD src1_sel:WORD_1
	v_fma_f16 v32, v116, v32, -v63
	v_mul_f16_sdwa v63, v117, v33 dst_sel:DWORD dst_unused:UNUSED_PAD src0_sel:DWORD src1_sel:WORD_1
	v_mul_f16_sdwa v84, v86, v33 dst_sel:DWORD dst_unused:UNUSED_PAD src0_sel:DWORD src1_sel:WORD_1
	v_fma_f16 v63, v86, v33, v63
	v_fma_f16 v33, v117, v33, -v84
	v_mul_f16_sdwa v84, v118, v34 dst_sel:DWORD dst_unused:UNUSED_PAD src0_sel:DWORD src1_sel:WORD_1
	v_fma_f16 v84, v67, v34, v84
	v_mul_f16_sdwa v67, v67, v34 dst_sel:DWORD dst_unused:UNUSED_PAD src0_sel:DWORD src1_sel:WORD_1
	v_add_f16_e32 v86, v122, v24
	v_fma_f16 v34, v118, v34, -v67
	v_mul_f16_sdwa v67, v119, v35 dst_sel:DWORD dst_unused:UNUSED_PAD src0_sel:DWORD src1_sel:WORD_1
	v_fma_f16 v86, v86, -0.5, v61
	v_sub_f16_e32 v87, v121, v68
	v_fma_f16 v67, v88, v35, v67
	v_mul_f16_sdwa v85, v88, v35 dst_sel:DWORD dst_unused:UNUSED_PAD src0_sel:DWORD src1_sel:WORD_1
	v_fma_f16 v88, v87, s3, v86
	v_sub_f16_e32 v89, v64, v25
	s_mov_b32 s2, 0xb8b4
	v_sub_f16_e32 v90, v120, v122
	v_sub_f16_e32 v91, v65, v24
	v_fma_f16 v86, v87, s7, v86
	v_fma_f16 v88, v89, s2, v88
	v_add_f16_e32 v90, v90, v91
	v_fma_f16 v86, v89, s8, v86
	v_fma_f16 v35, v119, v35, -v85
	v_add_f16_e32 v85, v61, v120
	v_fma_f16 v88, v90, s6, v88
	v_fma_f16 v86, v90, s6, v86
	v_add_f16_e32 v90, v120, v65
	v_add_f16_e32 v85, v85, v122
	v_fma_f16 v61, v90, -0.5, v61
	v_add_f16_e32 v85, v85, v24
	v_fma_f16 v90, v89, s7, v61
	v_sub_f16_e32 v91, v122, v120
	v_sub_f16_e32 v96, v24, v65
	v_fma_f16 v61, v89, s3, v61
	v_add_f16_e32 v89, v64, v25
	v_add_f16_e32 v85, v85, v65
	v_fma_f16 v90, v87, s2, v90
	v_add_f16_e32 v91, v91, v96
	v_fma_f16 v61, v87, s8, v61
	v_fma_f16 v89, v89, -0.5, v52
	v_sub_f16_e32 v65, v120, v65
	v_fma_f16 v90, v91, s6, v90
	v_fma_f16 v61, v91, s6, v61
	v_fma_f16 v91, v65, s7, v89
	v_sub_f16_e32 v24, v122, v24
	v_sub_f16_e32 v96, v121, v64
	;; [unrolled: 1-line block ×3, first 2 shown]
	v_fma_f16 v89, v65, s3, v89
	v_fma_f16 v91, v24, s8, v91
	v_add_f16_e32 v96, v96, v97
	v_fma_f16 v89, v24, s2, v89
	v_add_f16_e32 v87, v52, v121
	v_fma_f16 v91, v96, s6, v91
	v_fma_f16 v89, v96, s6, v89
	v_add_f16_e32 v96, v121, v68
	v_add_f16_e32 v87, v87, v64
	v_fma_f16 v52, v96, -0.5, v52
	v_add_f16_e32 v87, v87, v25
	v_fma_f16 v96, v24, s3, v52
	v_sub_f16_e32 v64, v64, v121
	v_sub_f16_e32 v25, v25, v68
	v_fma_f16 v24, v24, s7, v52
	v_add_f16_e32 v52, v3, v37
	v_fma_f16 v96, v65, s8, v96
	v_add_f16_e32 v25, v64, v25
	v_fma_f16 v24, v65, s2, v24
	v_fma_f16 v52, v52, -0.5, v92
	v_sub_f16_e32 v65, v2, v17
	v_add_f16_e32 v87, v87, v68
	v_fma_f16 v64, v25, s6, v96
	v_fma_f16 v68, v65, s3, v52
	v_sub_f16_e32 v96, v36, v38
	v_sub_f16_e32 v97, v1, v3
	;; [unrolled: 1-line block ×3, first 2 shown]
	v_fma_f16 v52, v65, s7, v52
	v_fma_f16 v68, v96, s2, v68
	v_add_f16_e32 v97, v97, v98
	v_fma_f16 v52, v96, s8, v52
	v_fma_f16 v68, v97, s6, v68
	;; [unrolled: 1-line block ×3, first 2 shown]
	v_add_f16_e32 v97, v1, v62
	v_fma_f16 v24, v25, s6, v24
	v_add_f16_e32 v25, v92, v1
	v_fma_f16 v92, v97, -0.5, v92
	v_add_f16_e32 v25, v25, v3
	v_fma_f16 v97, v96, s7, v92
	v_fma_f16 v92, v96, s3, v92
	v_add_f16_e32 v96, v36, v38
	v_add_f16_e32 v25, v25, v37
	v_sub_f16_e32 v98, v3, v1
	v_sub_f16_e32 v100, v37, v62
	v_fma_f16 v96, v96, -0.5, v95
	v_sub_f16_e32 v1, v1, v62
	v_add_f16_e32 v25, v25, v62
	v_fma_f16 v97, v65, s2, v97
	v_add_f16_e32 v98, v98, v100
	v_fma_f16 v65, v65, s8, v92
	v_fma_f16 v62, v1, s7, v96
	v_sub_f16_e32 v3, v3, v37
	v_fma_f16 v97, v98, s6, v97
	v_fma_f16 v65, v98, s6, v65
	;; [unrolled: 1-line block ×3, first 2 shown]
	v_sub_f16_e32 v62, v2, v36
	v_sub_f16_e32 v98, v17, v38
	v_fma_f16 v96, v1, s3, v96
	v_add_f16_e32 v62, v62, v98
	v_fma_f16 v96, v3, s2, v96
	v_add_f16_e32 v92, v95, v2
	v_fma_f16 v37, v62, s6, v37
	v_fma_f16 v62, v62, s6, v96
	v_add_f16_e32 v96, v2, v17
	v_add_f16_e32 v92, v92, v36
	v_fma_f16 v95, v96, -0.5, v95
	v_add_f16_e32 v92, v92, v38
	v_fma_f16 v96, v3, s3, v95
	v_fma_f16 v3, v3, s7, v95
	v_add_f16_e32 v92, v92, v17
	v_fma_f16 v96, v1, s8, v96
	v_sub_f16_e32 v2, v36, v2
	v_sub_f16_e32 v17, v38, v17
	v_fma_f16 v1, v1, s2, v3
	v_add_f16_e32 v3, v66, v69
	v_add_f16_e32 v2, v2, v17
	v_fma_f16 v3, v3, -0.5, v93
	v_sub_f16_e32 v36, v40, v43
	v_fma_f16 v17, v2, s6, v96
	v_fma_f16 v38, v36, s3, v3
	v_sub_f16_e32 v95, v41, v42
	v_sub_f16_e32 v96, v39, v66
	;; [unrolled: 1-line block ×3, first 2 shown]
	v_fma_f16 v3, v36, s7, v3
	v_fma_f16 v38, v95, s2, v38
	v_add_f16_e32 v96, v96, v98
	v_fma_f16 v3, v95, s8, v3
	v_fma_f16 v38, v96, s6, v38
	;; [unrolled: 1-line block ×3, first 2 shown]
	v_add_f16_e32 v96, v39, v70
	v_fma_f16 v1, v2, s6, v1
	v_add_f16_e32 v2, v93, v39
	v_fma_f16 v93, v96, -0.5, v93
	v_add_f16_e32 v2, v2, v66
	v_fma_f16 v96, v95, s7, v93
	v_fma_f16 v93, v95, s3, v93
	v_add_f16_e32 v95, v41, v42
	v_add_f16_e32 v2, v2, v69
	v_sub_f16_e32 v98, v66, v39
	v_sub_f16_e32 v100, v69, v70
	v_fma_f16 v95, v95, -0.5, v99
	v_sub_f16_e32 v39, v39, v70
	v_add_f16_e32 v2, v2, v70
	v_fma_f16 v96, v36, s2, v96
	v_add_f16_e32 v98, v98, v100
	v_fma_f16 v36, v36, s8, v93
	v_fma_f16 v70, v39, s7, v95
	v_sub_f16_e32 v66, v66, v69
	v_fma_f16 v96, v98, s6, v96
	v_fma_f16 v36, v98, s6, v36
	;; [unrolled: 1-line block ×3, first 2 shown]
	v_sub_f16_e32 v70, v40, v41
	v_sub_f16_e32 v98, v43, v42
	v_fma_f16 v95, v39, s3, v95
	v_add_f16_e32 v70, v70, v98
	v_fma_f16 v95, v66, s2, v95
	v_add_f16_e32 v93, v99, v40
	v_fma_f16 v69, v70, s6, v69
	v_fma_f16 v70, v70, s6, v95
	v_add_f16_e32 v95, v40, v43
	v_add_f16_e32 v93, v93, v41
	v_fma_f16 v95, v95, -0.5, v99
	v_add_f16_e32 v93, v93, v42
	v_fma_f16 v98, v66, s3, v95
	v_sub_f16_e32 v40, v41, v40
	v_sub_f16_e32 v41, v42, v43
	v_fma_f16 v42, v66, s7, v95
	v_fma_f16 v98, v39, s8, v98
	;; [unrolled: 1-line block ×3, first 2 shown]
	v_add_f16_e32 v42, v72, v73
	v_add_f16_e32 v93, v93, v43
	;; [unrolled: 1-line block ×3, first 2 shown]
	v_fma_f16 v42, v42, -0.5, v94
	v_sub_f16_e32 v43, v44, v47
	v_fma_f16 v41, v40, s6, v98
	v_fma_f16 v66, v43, s3, v42
	v_sub_f16_e32 v95, v45, v46
	v_sub_f16_e32 v98, v71, v72
	v_sub_f16_e32 v99, v74, v73
	v_fma_f16 v42, v43, s7, v42
	v_fma_f16 v66, v95, s2, v66
	v_add_f16_e32 v98, v98, v99
	v_fma_f16 v42, v95, s8, v42
	v_fma_f16 v66, v98, s6, v66
	v_fma_f16 v42, v98, s6, v42
	v_add_f16_e32 v98, v71, v74
	v_fma_f16 v39, v40, s6, v39
	v_add_f16_e32 v40, v94, v71
	v_fma_f16 v94, v98, -0.5, v94
	v_add_f16_e32 v40, v40, v72
	v_fma_f16 v98, v95, s7, v94
	v_fma_f16 v94, v95, s3, v94
	v_add_f16_e32 v95, v45, v46
	v_add_f16_e32 v40, v40, v73
	v_sub_f16_e32 v99, v72, v71
	v_sub_f16_e32 v100, v73, v74
	v_fma_f16 v95, v95, -0.5, v15
	v_sub_f16_e32 v71, v71, v74
	v_add_f16_e32 v40, v40, v74
	v_fma_f16 v98, v43, s2, v98
	v_add_f16_e32 v99, v99, v100
	v_fma_f16 v43, v43, s8, v94
	v_fma_f16 v74, v71, s7, v95
	v_sub_f16_e32 v72, v72, v73
	v_fma_f16 v98, v99, s6, v98
	v_fma_f16 v43, v99, s6, v43
	v_fma_f16 v73, v72, s8, v74
	v_sub_f16_e32 v74, v44, v45
	v_sub_f16_e32 v99, v47, v46
	v_fma_f16 v95, v71, s3, v95
	v_add_f16_e32 v74, v74, v99
	v_fma_f16 v95, v72, s2, v95
	v_add_f16_e32 v94, v15, v44
	v_fma_f16 v73, v74, s6, v73
	v_fma_f16 v74, v74, s6, v95
	v_add_f16_e32 v95, v44, v47
	v_add_f16_e32 v94, v94, v45
	v_fma_f16 v15, v95, -0.5, v15
	v_add_f16_e32 v94, v94, v46
	v_fma_f16 v95, v72, s3, v15
	v_sub_f16_e32 v44, v45, v44
	v_sub_f16_e32 v45, v46, v47
	v_add_f16_e32 v46, v76, v77
	v_add_f16_e32 v94, v94, v47
	v_fma_f16 v95, v71, s8, v95
	v_add_f16_e32 v44, v44, v45
	v_fma_f16 v15, v72, s7, v15
	v_fma_f16 v46, v46, -0.5, v31
	v_sub_f16_e32 v47, v26, v29
	v_fma_f16 v45, v44, s6, v95
	v_fma_f16 v15, v71, s2, v15
	v_fma_f16 v71, v47, s3, v46
	v_sub_f16_e32 v72, v27, v28
	v_sub_f16_e32 v95, v75, v76
	v_sub_f16_e32 v99, v78, v77
	v_fma_f16 v46, v47, s7, v46
	v_fma_f16 v71, v72, s2, v71
	v_add_f16_e32 v95, v95, v99
	v_fma_f16 v46, v72, s8, v46
	v_fma_f16 v71, v95, s6, v71
	v_fma_f16 v46, v95, s6, v46
	v_add_f16_e32 v95, v75, v78
	v_fma_f16 v15, v44, s6, v15
	v_add_f16_e32 v44, v31, v75
	v_fma_f16 v31, v95, -0.5, v31
	v_add_f16_e32 v44, v44, v76
	v_fma_f16 v95, v72, s7, v31
	v_fma_f16 v31, v72, s3, v31
	v_add_f16_e32 v72, v27, v28
	v_add_f16_e32 v44, v44, v77
	v_sub_f16_e32 v99, v76, v75
	v_sub_f16_e32 v100, v77, v78
	v_fma_f16 v72, v72, -0.5, v13
	v_sub_f16_e32 v75, v75, v78
	v_add_f16_e32 v44, v44, v78
	v_fma_f16 v95, v47, s2, v95
	v_add_f16_e32 v99, v99, v100
	v_fma_f16 v31, v47, s8, v31
	v_fma_f16 v78, v75, s7, v72
	v_sub_f16_e32 v76, v76, v77
	v_fma_f16 v95, v99, s6, v95
	v_fma_f16 v31, v99, s6, v31
	v_fma_f16 v77, v76, s8, v78
	v_sub_f16_e32 v78, v26, v27
	v_sub_f16_e32 v99, v29, v28
	v_fma_f16 v72, v75, s3, v72
	v_add_f16_e32 v78, v78, v99
	v_fma_f16 v72, v76, s2, v72
	v_add_f16_e32 v47, v13, v26
	v_fma_f16 v77, v78, s6, v77
	v_fma_f16 v72, v78, s6, v72
	v_add_f16_e32 v78, v26, v29
	v_add_f16_e32 v47, v47, v27
	v_fma_f16 v13, v78, -0.5, v13
	v_add_f16_e32 v47, v47, v28
	v_fma_f16 v78, v76, s3, v13
	v_sub_f16_e32 v26, v27, v26
	v_sub_f16_e32 v27, v28, v29
	v_add_f16_e32 v28, v80, v81
	v_add_f16_e32 v47, v47, v29
	v_fma_f16 v78, v75, s8, v78
	v_add_f16_e32 v26, v26, v27
	v_fma_f16 v13, v76, s7, v13
	v_fma_f16 v28, v28, -0.5, v21
	v_sub_f16_e32 v29, v48, v51
	v_fma_f16 v27, v26, s6, v78
	;; [unrolled: 56-line block ×3, first 2 shown]
	v_fma_f16 v11, v79, s2, v11
	v_fma_f16 v79, v51, s3, v50
	v_sub_f16_e32 v80, v33, v34
	v_sub_f16_e32 v82, v83, v63
	;; [unrolled: 1-line block ×3, first 2 shown]
	v_fma_f16 v50, v51, s7, v50
	v_fma_f16 v79, v80, s2, v79
	v_add_f16_e32 v82, v82, v99
	v_fma_f16 v50, v80, s8, v50
	v_fma_f16 v11, v48, s6, v11
	v_add_f16_e32 v48, v19, v83
	;; [unrolled: 3-line block ×3, first 2 shown]
	v_add_f16_e32 v48, v48, v63
	v_fma_f16 v19, v82, -0.5, v19
	v_add_f16_e32 v48, v48, v84
	v_fma_f16 v82, v80, s7, v19
	v_sub_f16_e32 v99, v63, v83
	v_sub_f16_e32 v100, v84, v67
	v_fma_f16 v19, v80, s3, v19
	v_add_f16_e32 v80, v33, v34
	v_add_f16_e32 v48, v48, v67
	v_fma_f16 v82, v51, s2, v82
	v_add_f16_e32 v99, v99, v100
	v_fma_f16 v19, v51, s8, v19
	v_fma_f16 v80, v80, -0.5, v5
	v_sub_f16_e32 v67, v83, v67
	v_fma_f16 v82, v99, s6, v82
	v_fma_f16 v19, v99, s6, v19
	;; [unrolled: 1-line block ×3, first 2 shown]
	v_sub_f16_e32 v63, v63, v84
	v_sub_f16_e32 v84, v32, v33
	;; [unrolled: 1-line block ×3, first 2 shown]
	v_fma_f16 v80, v67, s3, v80
	v_fma_f16 v83, v63, s8, v83
	v_add_f16_e32 v84, v84, v99
	v_fma_f16 v80, v63, s2, v80
	v_fma_f16 v83, v84, s6, v83
	;; [unrolled: 1-line block ×3, first 2 shown]
	v_add_f16_e32 v84, v32, v35
	v_add_f16_e32 v51, v5, v32
	v_fma_f16 v5, v84, -0.5, v5
	v_add_f16_e32 v51, v51, v33
	v_fma_f16 v84, v63, s3, v5
	v_sub_f16_e32 v32, v33, v32
	v_sub_f16_e32 v33, v34, v35
	v_fma_f16 v5, v63, s7, v5
	v_fma_f16 v84, v67, s8, v84
	v_add_f16_e32 v32, v32, v33
	v_fma_f16 v5, v67, s2, v5
	v_fma_f16 v33, v32, s6, v84
	;; [unrolled: 1-line block ×3, first 2 shown]
	v_pack_b32_f16 v32, v85, v87
	s_waitcnt lgkmcnt(0)
	; wave barrier
	ds_write_b32 v53, v32
	v_pack_b32_f16 v32, v88, v91
	v_pack_b32_f16 v24, v61, v24
	ds_write_b32 v53, v32 offset:1568
	v_pack_b32_f16 v32, v90, v64
	ds_write_b32 v53, v24 offset:4704
	v_pack_b32_f16 v24, v86, v89
	v_pack_b32_f16 v1, v65, v1
	ds_write_b32 v53, v32 offset:3136
	ds_write_b32 v53, v24 offset:6272
	v_pack_b32_f16 v24, v25, v92
	ds_write_b32 v57, v1 offset:4704
	v_pack_b32_f16 v1, v52, v62
	ds_write_b32 v57, v24
	v_pack_b32_f16 v24, v68, v37
	v_pack_b32_f16 v17, v97, v17
	ds_write_b32 v57, v1 offset:6272
	v_pack_b32_f16 v1, v2, v93
	ds_write_b32 v57, v24 offset:1568
	ds_write_b32 v57, v17 offset:3136
	ds_write_b32 v56, v1
	v_pack_b32_f16 v1, v38, v69
	ds_write_b32 v56, v1 offset:1568
	v_pack_b32_f16 v1, v96, v41
	ds_write_b32 v56, v1 offset:3136
	v_pack_b32_f16 v1, v36, v39
	ds_write_b32 v56, v1 offset:4704
	v_pack_b32_f16 v1, v3, v70
	ds_write_b32 v56, v1 offset:6272
	v_pack_b32_f16 v1, v40, v94
	ds_write_b32 v55, v1
	v_pack_b32_f16 v1, v66, v73
	ds_write_b32 v55, v1 offset:1568
	v_pack_b32_f16 v1, v98, v45
	ds_write_b32 v55, v1 offset:3136
	v_pack_b32_f16 v1, v43, v15
	ds_write_b32 v55, v1 offset:4704
	v_pack_b32_f16 v1, v42, v74
	ds_write_b32 v55, v1 offset:6272
	v_pack_b32_f16 v1, v44, v47
	ds_write_b32 v54, v1
	v_pack_b32_f16 v1, v71, v77
	ds_write_b32 v54, v1 offset:1568
	v_pack_b32_f16 v1, v95, v27
	ds_write_b32 v54, v1 offset:3136
	v_pack_b32_f16 v1, v31, v13
	ds_write_b32 v54, v1 offset:4704
	v_pack_b32_f16 v1, v46, v72
	ds_write_b32 v54, v1 offset:6272
	v_pack_b32_f16 v1, v26, v29
	ds_write_b32 v30, v1
	v_pack_b32_f16 v1, v75, v81
	ds_write_b32 v30, v1 offset:1568
	v_pack_b32_f16 v1, v78, v49
	v_add_f16_e32 v51, v51, v34
	ds_write_b32 v30, v1 offset:3136
	v_pack_b32_f16 v1, v21, v11
	v_add_f16_e32 v51, v51, v35
	ds_write_b32 v30, v1 offset:4704
	v_pack_b32_f16 v1, v28, v76
	ds_write_b32 v30, v1 offset:6272
	v_pack_b32_f16 v1, v48, v51
	ds_write_b32 v60, v1
	v_pack_b32_f16 v1, v79, v83
	ds_write_b32 v60, v1 offset:1568
	v_pack_b32_f16 v1, v82, v33
	ds_write_b32 v60, v1 offset:3136
	;; [unrolled: 2-line block ×4, first 2 shown]
	s_waitcnt lgkmcnt(0)
	; wave barrier
	s_waitcnt lgkmcnt(0)
	ds_read_b32 v11, v53
	s_add_u32 s8, s12, 0x1e90
	s_addc_u32 s9, s13, 0
	v_sub_u32_e32 v2, 0, v0
	v_cmp_ne_u32_e64 s[2:3], 0, v4
                                        ; implicit-def: $vgpr13
                                        ; implicit-def: $vgpr3
                                        ; implicit-def: $vgpr15
                                        ; implicit-def: $vgpr0_vgpr1
	s_and_saveexec_b64 s[6:7], s[2:3]
	s_xor_b64 s[6:7], exec, s[6:7]
	s_cbranch_execz .LBB0_23
; %bb.22:
	v_mov_b32_e32 v5, 0
	v_lshlrev_b64 v[0:1], 2, v[4:5]
	v_mov_b32_e32 v3, s9
	v_add_co_u32_e64 v0, s[2:3], s8, v0
	v_addc_co_u32_e64 v1, s[2:3], v3, v1, s[2:3]
	global_load_dword v0, v[0:1], off
	ds_read_b32 v1, v2 offset:7840
	s_waitcnt lgkmcnt(0)
	v_add_f16_sdwa v13, v1, v11 dst_sel:DWORD dst_unused:UNUSED_PAD src0_sel:WORD_1 src1_sel:WORD_1
	v_sub_f16_e32 v15, v11, v1
	v_add_f16_e32 v3, v1, v11
	v_sub_f16_sdwa v1, v11, v1 dst_sel:DWORD dst_unused:UNUSED_PAD src0_sel:WORD_1 src1_sel:WORD_1
	v_mul_f16_e32 v11, 0.5, v13
	v_mul_f16_e32 v13, 0.5, v15
	;; [unrolled: 1-line block ×3, first 2 shown]
	s_waitcnt vmcnt(0)
	v_lshrrev_b32_e32 v15, 16, v0
	v_mul_f16_e32 v17, v15, v13
	v_fma_f16 v19, v11, v15, v1
	v_fma_f16 v1, v11, v15, -v1
	v_fma_f16 v21, v3, 0.5, v17
	v_fma_f16 v15, -v0, v13, v19
	v_fma_f16 v3, v3, 0.5, -v17
	v_fma_f16 v13, -v0, v13, v1
	v_fma_f16 v1, v0, v11, v21
	v_fma_f16 v3, -v0, v11, v3
	ds_write_b16 v53, v1
	v_mov_b32_e32 v0, v4
	v_mov_b32_e32 v1, v5
                                        ; implicit-def: $vgpr11
.LBB0_23:
	s_andn2_saveexec_b64 s[2:3], s[6:7]
	s_cbranch_execz .LBB0_25
; %bb.24:
	v_mov_b32_e32 v15, 0
	ds_read_u16 v5, v15 offset:3922
	s_waitcnt lgkmcnt(1)
	v_add_f16_sdwa v13, v11, v11 dst_sel:DWORD dst_unused:UNUSED_PAD src0_sel:WORD_1 src1_sel:DWORD
	v_mov_b32_e32 v0, 0
	v_sub_f16_sdwa v3, v11, v11 dst_sel:DWORD dst_unused:UNUSED_PAD src0_sel:DWORD src1_sel:WORD_1
	v_mov_b32_e32 v1, 0
	ds_write_b16 v53, v13
	s_waitcnt lgkmcnt(1)
	v_xor_b32_e32 v5, 0x8000, v5
	v_mov_b32_e32 v13, 0
	ds_write_b16 v15, v5 offset:3922
.LBB0_25:
	s_or_b64 exec, exec, s[2:3]
	s_waitcnt lgkmcnt(0)
	v_mov_b32_e32 v11, 0
	v_lshlrev_b64 v[24:25], 2, v[10:11]
	v_mov_b32_e32 v5, s9
	v_add_co_u32_e64 v24, s[2:3], s8, v24
	v_addc_co_u32_e64 v25, s[2:3], v5, v25, s[2:3]
	global_load_dword v5, v[24:25], off
	v_mov_b32_e32 v24, v11
	v_lshlrev_b64 v[23:24], 2, v[23:24]
	v_mov_b32_e32 v10, s9
	v_add_co_u32_e64 v23, s[2:3], s8, v23
	v_addc_co_u32_e64 v24, s[2:3], v10, v24, s[2:3]
	global_load_dword v24, v[23:24], off
	s_mov_b32 s7, 0x5040100
	v_perm_b32 v3, v13, v3, s7
	v_mov_b32_e32 v13, v11
	ds_write_b16 v53, v15 offset:2
	v_mov_b32_e32 v15, v11
	v_mov_b32_e32 v17, v11
	;; [unrolled: 1-line block ×5, first 2 shown]
	v_lshlrev_b64 v[10:11], 2, v[12:13]
	v_mov_b32_e32 v25, s9
	v_add_co_u32_e64 v10, s[2:3], s8, v10
	ds_write_b32 v2, v3 offset:7840
	v_addc_co_u32_e64 v11, s[2:3], v25, v11, s[2:3]
	v_lshlrev_b64 v[12:13], 2, v[14:15]
	v_lshlrev_b64 v[14:15], 2, v[16:17]
	;; [unrolled: 1-line block ×5, first 2 shown]
	ds_read_b32 v3, v57
	ds_read_b32 v22, v2 offset:7616
	global_load_dword v23, v[10:11], off
	v_mov_b32_e32 v26, s9
	v_add_co_u32_e64 v10, s[2:3], s8, v12
	v_addc_co_u32_e64 v11, s[2:3], v26, v13, s[2:3]
	v_mov_b32_e32 v27, s9
	v_add_co_u32_e64 v12, s[2:3], s8, v14
	v_addc_co_u32_e64 v13, s[2:3], v27, v15, s[2:3]
	;; [unrolled: 3-line block ×5, first 2 shown]
	global_load_dword v20, v[10:11], off
	global_load_dword v21, v[12:13], off
	;; [unrolled: 1-line block ×5, first 2 shown]
	s_mov_b32 s6, 0xffff
	s_waitcnt lgkmcnt(0)
	v_pk_add_f16 v10, v3, v22 neg_lo:[0,1] neg_hi:[0,1]
	v_pk_add_f16 v3, v3, v22
	v_bfi_b32 v11, s6, v10, v3
	v_bfi_b32 v3, s6, v3, v10
	v_pk_mul_f16 v10, v11, 0.5 op_sel_hi:[1,0]
	v_pk_mul_f16 v3, v3, 0.5 op_sel_hi:[1,0]
	v_lshlrev_b64 v[0:1], 2, v[0:1]
	v_add_co_u32_e64 v0, s[2:3], s8, v0
	s_waitcnt vmcnt(7)
	v_pk_fma_f16 v11, v5, v10, v3 op_sel:[1,0,0]
	v_pk_mul_f16 v12, v5, v10 op_sel_hi:[0,1]
	v_pk_fma_f16 v13, v5, v10, v3 op_sel:[1,0,0] neg_lo:[1,0,0] neg_hi:[1,0,0]
	v_pk_fma_f16 v3, v5, v10, v3 op_sel:[1,0,0] neg_lo:[0,0,1] neg_hi:[0,0,1]
	v_pk_add_f16 v5, v11, v12 op_sel:[0,1] op_sel_hi:[1,0]
	v_pk_add_f16 v10, v11, v12 op_sel:[0,1] op_sel_hi:[1,0] neg_lo:[0,1] neg_hi:[0,1]
	v_pk_add_f16 v11, v13, v12 op_sel:[0,1] op_sel_hi:[1,0] neg_lo:[0,1] neg_hi:[0,1]
	;; [unrolled: 1-line block ×3, first 2 shown]
	v_bfi_b32 v5, s6, v5, v10
	v_bfi_b32 v3, s6, v11, v3
	ds_write_b32 v57, v5
	ds_write_b32 v2, v3 offset:7616
	ds_read_b32 v3, v56
	ds_read_b32 v5, v2 offset:7392
	s_waitcnt lgkmcnt(0)
	v_pk_add_f16 v10, v3, v5 neg_lo:[0,1] neg_hi:[0,1]
	v_pk_add_f16 v3, v3, v5
	v_bfi_b32 v5, s6, v10, v3
	v_bfi_b32 v3, s6, v3, v10
	v_pk_mul_f16 v5, v5, 0.5 op_sel_hi:[1,0]
	v_pk_mul_f16 v3, v3, 0.5 op_sel_hi:[1,0]
	s_waitcnt vmcnt(6)
	v_pk_fma_f16 v10, v24, v5, v3 op_sel:[1,0,0]
	v_pk_mul_f16 v11, v24, v5 op_sel_hi:[0,1]
	v_pk_add_f16 v12, v10, v11 op_sel:[0,1] op_sel_hi:[1,0]
	v_pk_add_f16 v10, v10, v11 op_sel:[0,1] op_sel_hi:[1,0] neg_lo:[0,1] neg_hi:[0,1]
	v_bfi_b32 v10, s6, v12, v10
	ds_write_b32 v56, v10
	v_pk_fma_f16 v10, v24, v5, v3 op_sel:[1,0,0] neg_lo:[1,0,0] neg_hi:[1,0,0]
	v_pk_fma_f16 v3, v24, v5, v3 op_sel:[1,0,0] neg_lo:[0,0,1] neg_hi:[0,0,1]
	v_pk_add_f16 v10, v10, v11 op_sel:[0,1] op_sel_hi:[1,0] neg_lo:[0,1] neg_hi:[0,1]
	v_pk_add_f16 v3, v3, v11 op_sel:[0,1] op_sel_hi:[1,0] neg_lo:[0,1] neg_hi:[0,1]
	v_bfi_b32 v3, s6, v10, v3
	ds_write_b32 v2, v3 offset:7392
	ds_read_b32 v3, v55
	ds_read_b32 v5, v2 offset:7168
	s_waitcnt lgkmcnt(0)
	v_pk_add_f16 v10, v3, v5 neg_lo:[0,1] neg_hi:[0,1]
	v_pk_add_f16 v3, v3, v5
	v_bfi_b32 v5, s6, v10, v3
	v_bfi_b32 v3, s6, v3, v10
	v_pk_mul_f16 v5, v5, 0.5 op_sel_hi:[1,0]
	v_pk_mul_f16 v3, v3, 0.5 op_sel_hi:[1,0]
	s_waitcnt vmcnt(5)
	v_pk_fma_f16 v10, v23, v5, v3 op_sel:[1,0,0]
	v_pk_mul_f16 v11, v23, v5 op_sel_hi:[0,1]
	v_pk_add_f16 v12, v10, v11 op_sel:[0,1] op_sel_hi:[1,0]
	v_pk_add_f16 v10, v10, v11 op_sel:[0,1] op_sel_hi:[1,0] neg_lo:[0,1] neg_hi:[0,1]
	v_bfi_b32 v10, s6, v12, v10
	ds_write_b32 v55, v10
	v_pk_fma_f16 v10, v23, v5, v3 op_sel:[1,0,0] neg_lo:[1,0,0] neg_hi:[1,0,0]
	v_pk_fma_f16 v3, v23, v5, v3 op_sel:[1,0,0] neg_lo:[0,0,1] neg_hi:[0,0,1]
	v_pk_add_f16 v10, v10, v11 op_sel:[0,1] op_sel_hi:[1,0] neg_lo:[0,1] neg_hi:[0,1]
	v_pk_add_f16 v3, v3, v11 op_sel:[0,1] op_sel_hi:[1,0] neg_lo:[0,1] neg_hi:[0,1]
	v_bfi_b32 v3, s6, v10, v3
	;; [unrolled: 22-line block ×4, first 2 shown]
	ds_write_b32 v2, v3 offset:6720
	ds_read_b32 v3, v60
	ds_read_b32 v5, v2 offset:6496
	s_waitcnt lgkmcnt(0)
	v_pk_add_f16 v10, v3, v5 neg_lo:[0,1] neg_hi:[0,1]
	v_pk_add_f16 v3, v3, v5
	v_bfi_b32 v5, s6, v10, v3
	v_bfi_b32 v3, s6, v3, v10
	v_mov_b32_e32 v10, s9
	v_addc_co_u32_e64 v1, s[2:3], v10, v1, s[2:3]
	global_load_dword v10, v[0:1], off offset:2016
	v_pk_mul_f16 v5, v5, 0.5 op_sel_hi:[1,0]
	v_pk_mul_f16 v3, v3, 0.5 op_sel_hi:[1,0]
	s_waitcnt vmcnt(3)
	v_pk_fma_f16 v11, v25, v5, v3 op_sel:[1,0,0]
	v_pk_mul_f16 v12, v25, v5 op_sel_hi:[0,1]
	v_pk_add_f16 v13, v11, v12 op_sel:[0,1] op_sel_hi:[1,0]
	v_pk_add_f16 v11, v11, v12 op_sel:[0,1] op_sel_hi:[1,0] neg_lo:[0,1] neg_hi:[0,1]
	v_bfi_b32 v11, s6, v13, v11
	ds_write_b32 v60, v11
	v_pk_fma_f16 v11, v25, v5, v3 op_sel:[1,0,0] neg_lo:[1,0,0] neg_hi:[1,0,0]
	v_pk_fma_f16 v3, v25, v5, v3 op_sel:[1,0,0] neg_lo:[0,0,1] neg_hi:[0,0,1]
	v_pk_add_f16 v11, v11, v12 op_sel:[0,1] op_sel_hi:[1,0] neg_lo:[0,1] neg_hi:[0,1]
	v_pk_add_f16 v3, v3, v12 op_sel:[0,1] op_sel_hi:[1,0] neg_lo:[0,1] neg_hi:[0,1]
	v_bfi_b32 v3, s6, v11, v3
	ds_write_b32 v2, v3 offset:6496
	ds_read_b32 v3, v59
	ds_read_b32 v5, v2 offset:6272
	s_waitcnt lgkmcnt(0)
	v_pk_add_f16 v11, v3, v5 neg_lo:[0,1] neg_hi:[0,1]
	v_pk_add_f16 v3, v3, v5
	v_bfi_b32 v5, s6, v11, v3
	v_bfi_b32 v3, s6, v3, v11
	global_load_dword v11, v[0:1], off offset:2240
	v_pk_mul_f16 v5, v5, 0.5 op_sel_hi:[1,0]
	v_pk_mul_f16 v3, v3, 0.5 op_sel_hi:[1,0]
	s_waitcnt vmcnt(3)
	v_pk_fma_f16 v12, v26, v5, v3 op_sel:[1,0,0]
	v_pk_mul_f16 v13, v26, v5 op_sel_hi:[0,1]
	v_pk_add_f16 v14, v12, v13 op_sel:[0,1] op_sel_hi:[1,0]
	v_pk_add_f16 v12, v12, v13 op_sel:[0,1] op_sel_hi:[1,0] neg_lo:[0,1] neg_hi:[0,1]
	v_bfi_b32 v12, s6, v14, v12
	ds_write_b32 v59, v12
	v_pk_fma_f16 v12, v26, v5, v3 op_sel:[1,0,0] neg_lo:[1,0,0] neg_hi:[1,0,0]
	v_pk_fma_f16 v3, v26, v5, v3 op_sel:[1,0,0] neg_lo:[0,0,1] neg_hi:[0,0,1]
	v_pk_add_f16 v12, v12, v13 op_sel:[0,1] op_sel_hi:[1,0] neg_lo:[0,1] neg_hi:[0,1]
	v_pk_add_f16 v3, v3, v13 op_sel:[0,1] op_sel_hi:[1,0] neg_lo:[0,1] neg_hi:[0,1]
	v_bfi_b32 v3, s6, v12, v3
	ds_write_b32 v2, v3 offset:6272
	ds_read_b32 v3, v58
	ds_read_b32 v5, v2 offset:6048
	s_waitcnt lgkmcnt(0)
	v_pk_add_f16 v12, v3, v5 neg_lo:[0,1] neg_hi:[0,1]
	v_pk_add_f16 v3, v3, v5
	v_bfi_b32 v5, s6, v12, v3
	v_bfi_b32 v3, s6, v3, v12
	global_load_dword v12, v[0:1], off offset:2464
	v_pk_mul_f16 v5, v5, 0.5 op_sel_hi:[1,0]
	v_pk_mul_f16 v3, v3, 0.5 op_sel_hi:[1,0]
	s_waitcnt vmcnt(3)
	v_pk_fma_f16 v13, v27, v5, v3 op_sel:[1,0,0]
	v_pk_mul_f16 v14, v27, v5 op_sel_hi:[0,1]
	v_pk_add_f16 v15, v13, v14 op_sel:[0,1] op_sel_hi:[1,0]
	v_pk_add_f16 v13, v13, v14 op_sel:[0,1] op_sel_hi:[1,0] neg_lo:[0,1] neg_hi:[0,1]
	v_bfi_b32 v13, s6, v15, v13
	ds_write_b32 v58, v13
	v_pk_fma_f16 v13, v27, v5, v3 op_sel:[1,0,0] neg_lo:[1,0,0] neg_hi:[1,0,0]
	v_pk_fma_f16 v3, v27, v5, v3 op_sel:[1,0,0] neg_lo:[0,0,1] neg_hi:[0,0,1]
	v_pk_add_f16 v13, v13, v14 op_sel:[0,1] op_sel_hi:[1,0] neg_lo:[0,1] neg_hi:[0,1]
	v_pk_add_f16 v3, v3, v14 op_sel:[0,1] op_sel_hi:[1,0] neg_lo:[0,1] neg_hi:[0,1]
	v_bfi_b32 v3, s6, v13, v3
	ds_write_b32 v2, v3 offset:6048
	ds_read_b32 v3, v53 offset:2016
	ds_read_b32 v5, v2 offset:5824
	global_load_dword v14, v[0:1], off offset:2688
	s_waitcnt lgkmcnt(0)
	v_pk_add_f16 v13, v3, v5 neg_lo:[0,1] neg_hi:[0,1]
	v_pk_add_f16 v3, v3, v5
	v_bfi_b32 v5, s6, v13, v3
	v_bfi_b32 v3, s6, v3, v13
	global_load_dword v13, v[0:1], off offset:2912
	global_load_dword v15, v[0:1], off offset:3136
	;; [unrolled: 1-line block ×4, first 2 shown]
	v_pk_mul_f16 v5, v5, 0.5 op_sel_hi:[1,0]
	v_pk_mul_f16 v3, v3, 0.5 op_sel_hi:[1,0]
	s_waitcnt vmcnt(7)
	v_pk_fma_f16 v18, v10, v5, v3 op_sel:[1,0,0]
	v_pk_mul_f16 v19, v10, v5 op_sel_hi:[0,1]
	v_pk_add_f16 v20, v18, v19 op_sel:[0,1] op_sel_hi:[1,0]
	v_pk_add_f16 v18, v18, v19 op_sel:[0,1] op_sel_hi:[1,0] neg_lo:[0,1] neg_hi:[0,1]
	v_bfi_b32 v18, s6, v20, v18
	ds_write_b32 v53, v18 offset:2016
	v_pk_fma_f16 v18, v10, v5, v3 op_sel:[1,0,0] neg_lo:[1,0,0] neg_hi:[1,0,0]
	v_pk_fma_f16 v3, v10, v5, v3 op_sel:[1,0,0] neg_lo:[0,0,1] neg_hi:[0,0,1]
	v_pk_add_f16 v18, v18, v19 op_sel:[0,1] op_sel_hi:[1,0] neg_lo:[0,1] neg_hi:[0,1]
	v_pk_add_f16 v3, v3, v19 op_sel:[0,1] op_sel_hi:[1,0] neg_lo:[0,1] neg_hi:[0,1]
	v_bfi_b32 v3, s6, v18, v3
	ds_write_b32 v2, v3 offset:5824
	ds_read_b32 v3, v53 offset:2240
	ds_read_b32 v5, v2 offset:5600
	s_waitcnt lgkmcnt(0)
	v_pk_add_f16 v10, v3, v5 neg_lo:[0,1] neg_hi:[0,1]
	v_pk_add_f16 v3, v3, v5
	v_bfi_b32 v5, s6, v10, v3
	v_bfi_b32 v3, s6, v3, v10
	v_pk_mul_f16 v5, v5, 0.5 op_sel_hi:[1,0]
	v_pk_mul_f16 v3, v3, 0.5 op_sel_hi:[1,0]
	s_waitcnt vmcnt(6)
	v_pk_fma_f16 v10, v11, v5, v3 op_sel:[1,0,0]
	v_pk_mul_f16 v18, v11, v5 op_sel_hi:[0,1]
	v_pk_add_f16 v19, v10, v18 op_sel:[0,1] op_sel_hi:[1,0]
	v_pk_add_f16 v10, v10, v18 op_sel:[0,1] op_sel_hi:[1,0] neg_lo:[0,1] neg_hi:[0,1]
	v_bfi_b32 v10, s6, v19, v10
	ds_write_b32 v53, v10 offset:2240
	v_pk_fma_f16 v10, v11, v5, v3 op_sel:[1,0,0] neg_lo:[1,0,0] neg_hi:[1,0,0]
	v_pk_fma_f16 v3, v11, v5, v3 op_sel:[1,0,0] neg_lo:[0,0,1] neg_hi:[0,0,1]
	v_pk_add_f16 v10, v10, v18 op_sel:[0,1] op_sel_hi:[1,0] neg_lo:[0,1] neg_hi:[0,1]
	v_pk_add_f16 v3, v3, v18 op_sel:[0,1] op_sel_hi:[1,0] neg_lo:[0,1] neg_hi:[0,1]
	v_bfi_b32 v3, s6, v10, v3
	ds_write_b32 v2, v3 offset:5600
	ds_read_b32 v3, v53 offset:2464
	ds_read_b32 v5, v2 offset:5376
	s_waitcnt lgkmcnt(0)
	v_pk_add_f16 v10, v3, v5 neg_lo:[0,1] neg_hi:[0,1]
	v_pk_add_f16 v3, v3, v5
	v_bfi_b32 v5, s6, v10, v3
	v_bfi_b32 v3, s6, v3, v10
	;; [unrolled: 22-line block ×7, first 2 shown]
	v_pk_mul_f16 v5, v5, 0.5 op_sel_hi:[1,0]
	v_pk_mul_f16 v3, v3, 0.5 op_sel_hi:[1,0]
	s_waitcnt vmcnt(0)
	v_pk_fma_f16 v10, v17, v5, v3 op_sel:[1,0,0]
	v_pk_mul_f16 v11, v17, v5 op_sel_hi:[0,1]
	v_pk_add_f16 v12, v10, v11 op_sel:[0,1] op_sel_hi:[1,0]
	v_pk_add_f16 v10, v10, v11 op_sel:[0,1] op_sel_hi:[1,0] neg_lo:[0,1] neg_hi:[0,1]
	v_bfi_b32 v10, s6, v12, v10
	ds_write_b32 v53, v10 offset:3584
	v_pk_fma_f16 v10, v17, v5, v3 op_sel:[1,0,0] neg_lo:[1,0,0] neg_hi:[1,0,0]
	v_pk_fma_f16 v3, v17, v5, v3 op_sel:[1,0,0] neg_lo:[0,0,1] neg_hi:[0,0,1]
	v_pk_add_f16 v10, v10, v11 op_sel:[0,1] op_sel_hi:[1,0] neg_lo:[0,1] neg_hi:[0,1]
	v_pk_add_f16 v3, v3, v11 op_sel:[0,1] op_sel_hi:[1,0] neg_lo:[0,1] neg_hi:[0,1]
	v_bfi_b32 v3, s6, v10, v3
	ds_write_b32 v2, v3 offset:4256
	s_and_saveexec_b64 s[2:3], s[0:1]
	s_cbranch_execz .LBB0_27
; %bb.26:
	global_load_dword v0, v[0:1], off offset:3808
	ds_read_b32 v1, v53 offset:3808
	ds_read_b32 v3, v2 offset:4032
	s_waitcnt lgkmcnt(0)
	v_pk_add_f16 v5, v1, v3 neg_lo:[0,1] neg_hi:[0,1]
	v_pk_add_f16 v1, v1, v3
	v_bfi_b32 v3, s6, v5, v1
	v_bfi_b32 v1, s6, v1, v5
	v_pk_mul_f16 v3, v3, 0.5 op_sel_hi:[1,0]
	v_pk_mul_f16 v1, v1, 0.5 op_sel_hi:[1,0]
	s_waitcnt vmcnt(0)
	v_pk_fma_f16 v5, v0, v3, v1 op_sel:[1,0,0]
	v_pk_mul_f16 v10, v0, v3 op_sel_hi:[0,1]
	v_pk_fma_f16 v11, v0, v3, v1 op_sel:[1,0,0] neg_lo:[1,0,0] neg_hi:[1,0,0]
	v_pk_fma_f16 v0, v0, v3, v1 op_sel:[1,0,0] neg_lo:[0,0,1] neg_hi:[0,0,1]
	v_pk_add_f16 v1, v5, v10 op_sel:[0,1] op_sel_hi:[1,0]
	v_pk_add_f16 v3, v5, v10 op_sel:[0,1] op_sel_hi:[1,0] neg_lo:[0,1] neg_hi:[0,1]
	v_pk_add_f16 v5, v11, v10 op_sel:[0,1] op_sel_hi:[1,0] neg_lo:[0,1] neg_hi:[0,1]
	v_pk_add_f16 v0, v0, v10 op_sel:[0,1] op_sel_hi:[1,0] neg_lo:[0,1] neg_hi:[0,1]
	v_bfi_b32 v1, s6, v1, v3
	v_bfi_b32 v0, s6, v5, v0
	ds_write_b32 v53, v1 offset:3808
	ds_write_b32 v2, v0 offset:4032
.LBB0_27:
	s_or_b64 exec, exec, s[2:3]
	s_waitcnt lgkmcnt(0)
	; wave barrier
	s_waitcnt lgkmcnt(0)
	s_and_saveexec_b64 s[0:1], vcc
	s_cbranch_execz .LBB0_30
; %bb.28:
	v_mul_lo_u32 v2, s5, v8
	v_mul_lo_u32 v3, s4, v9
	v_mad_u64_u32 v[0:1], s[0:1], s4, v8, 0
	v_mov_b32_e32 v9, s11
	v_lshlrev_b64 v[6:7], 2, v[6:7]
	v_add3_u32 v1, v1, v3, v2
	v_lshlrev_b64 v[0:1], 2, v[0:1]
	v_lshl_add_u32 v8, v4, 2, 0
	v_add_co_u32_e32 v0, vcc, s10, v0
	v_addc_co_u32_e32 v9, vcc, v9, v1, vcc
	v_mov_b32_e32 v5, 0
	ds_read2_b32 v[2:3], v8 offset1:56
	v_add_co_u32_e32 v1, vcc, v0, v6
	v_addc_co_u32_e32 v0, vcc, v9, v7, vcc
	v_lshlrev_b64 v[6:7], 2, v[4:5]
	v_add_u32_e32 v9, 0x400, v8
	v_add_co_u32_e32 v6, vcc, v1, v6
	v_addc_co_u32_e32 v7, vcc, v0, v7, vcc
	s_waitcnt lgkmcnt(0)
	global_store_dword v[6:7], v2, off
	v_add_u32_e32 v6, 56, v4
	v_mov_b32_e32 v7, v5
	v_lshlrev_b64 v[6:7], 2, v[6:7]
	v_add_u32_e32 v2, 0x70, v4
	v_add_co_u32_e32 v6, vcc, v1, v6
	v_addc_co_u32_e32 v7, vcc, v0, v7, vcc
	global_store_dword v[6:7], v3, off
	v_mov_b32_e32 v3, v5
	ds_read2_b32 v[6:7], v8 offset0:112 offset1:168
	v_lshlrev_b64 v[2:3], 2, v[2:3]
	v_add_co_u32_e32 v2, vcc, v1, v2
	v_addc_co_u32_e32 v3, vcc, v0, v3, vcc
	s_waitcnt lgkmcnt(0)
	global_store_dword v[2:3], v6, off
	v_add_u32_e32 v2, 0xa8, v4
	v_mov_b32_e32 v3, v5
	v_lshlrev_b64 v[2:3], 2, v[2:3]
	v_add_u32_e32 v6, 0x200, v8
	v_add_co_u32_e32 v2, vcc, v1, v2
	v_addc_co_u32_e32 v3, vcc, v0, v3, vcc
	global_store_dword v[2:3], v7, off
	v_add_u32_e32 v2, 0xe0, v4
	v_mov_b32_e32 v3, v5
	ds_read2_b32 v[6:7], v6 offset0:96 offset1:152
	v_lshlrev_b64 v[2:3], 2, v[2:3]
	v_add_co_u32_e32 v2, vcc, v1, v2
	v_addc_co_u32_e32 v3, vcc, v0, v3, vcc
	s_waitcnt lgkmcnt(0)
	global_store_dword v[2:3], v6, off
	v_add_u32_e32 v2, 0x118, v4
	v_mov_b32_e32 v3, v5
	v_lshlrev_b64 v[2:3], 2, v[2:3]
	v_add_co_u32_e32 v2, vcc, v1, v2
	v_addc_co_u32_e32 v3, vcc, v0, v3, vcc
	global_store_dword v[2:3], v7, off
	v_add_u32_e32 v2, 0x150, v4
	v_mov_b32_e32 v3, v5
	ds_read2_b32 v[6:7], v9 offset0:80 offset1:136
	v_lshlrev_b64 v[2:3], 2, v[2:3]
	v_add_co_u32_e32 v2, vcc, v1, v2
	v_addc_co_u32_e32 v3, vcc, v0, v3, vcc
	s_waitcnt lgkmcnt(0)
	global_store_dword v[2:3], v6, off
	v_add_u32_e32 v2, 0x188, v4
	v_mov_b32_e32 v3, v5
	v_lshlrev_b64 v[2:3], 2, v[2:3]
	v_add_co_u32_e32 v2, vcc, v1, v2
	v_addc_co_u32_e32 v3, vcc, v0, v3, vcc
	global_store_dword v[2:3], v7, off
	v_add_u32_e32 v2, 0x1c0, v4
	v_mov_b32_e32 v3, v5
	ds_read2_b32 v[6:7], v9 offset0:192 offset1:248
	v_lshlrev_b64 v[2:3], 2, v[2:3]
	v_add_u32_e32 v9, 0x800, v8
	v_add_co_u32_e32 v2, vcc, v1, v2
	v_addc_co_u32_e32 v3, vcc, v0, v3, vcc
	s_waitcnt lgkmcnt(0)
	global_store_dword v[2:3], v6, off
	v_add_u32_e32 v2, 0x1f8, v4
	v_mov_b32_e32 v3, v5
	v_lshlrev_b64 v[2:3], 2, v[2:3]
	v_add_co_u32_e32 v2, vcc, v1, v2
	v_addc_co_u32_e32 v3, vcc, v0, v3, vcc
	global_store_dword v[2:3], v7, off
	v_add_u32_e32 v2, 0x230, v4
	v_mov_b32_e32 v3, v5
	ds_read2_b32 v[6:7], v9 offset0:48 offset1:104
	v_lshlrev_b64 v[2:3], 2, v[2:3]
	v_add_co_u32_e32 v2, vcc, v1, v2
	v_addc_co_u32_e32 v3, vcc, v0, v3, vcc
	s_waitcnt lgkmcnt(0)
	global_store_dword v[2:3], v6, off
	v_add_u32_e32 v2, 0x268, v4
	v_mov_b32_e32 v3, v5
	v_lshlrev_b64 v[2:3], 2, v[2:3]
	v_add_co_u32_e32 v2, vcc, v1, v2
	v_addc_co_u32_e32 v3, vcc, v0, v3, vcc
	global_store_dword v[2:3], v7, off
	v_add_u32_e32 v2, 0x2a0, v4
	v_mov_b32_e32 v3, v5
	ds_read2_b32 v[6:7], v9 offset0:160 offset1:216
	v_lshlrev_b64 v[2:3], 2, v[2:3]
	v_add_u32_e32 v9, 0xc00, v8
	;; [unrolled: 29-line block ×3, first 2 shown]
	v_add_co_u32_e32 v2, vcc, v1, v2
	v_addc_co_u32_e32 v3, vcc, v0, v3, vcc
	s_waitcnt lgkmcnt(0)
	global_store_dword v[2:3], v6, off
	v_add_u32_e32 v2, 0x3b8, v4
	v_mov_b32_e32 v3, v5
	v_lshlrev_b64 v[2:3], 2, v[2:3]
	v_add_u32_e32 v6, 0xe00, v8
	v_add_co_u32_e32 v2, vcc, v1, v2
	v_addc_co_u32_e32 v3, vcc, v0, v3, vcc
	global_store_dword v[2:3], v7, off
	v_add_u32_e32 v2, 0x3f0, v4
	v_mov_b32_e32 v3, v5
	ds_read2_b32 v[6:7], v6 offset0:112 offset1:168
	v_lshlrev_b64 v[2:3], 2, v[2:3]
	v_add_co_u32_e32 v2, vcc, v1, v2
	v_addc_co_u32_e32 v3, vcc, v0, v3, vcc
	s_waitcnt lgkmcnt(0)
	global_store_dword v[2:3], v6, off
	v_add_u32_e32 v2, 0x428, v4
	v_mov_b32_e32 v3, v5
	v_lshlrev_b64 v[2:3], 2, v[2:3]
	v_add_u32_e32 v6, 0x1000, v8
	v_add_co_u32_e32 v2, vcc, v1, v2
	v_addc_co_u32_e32 v3, vcc, v0, v3, vcc
	global_store_dword v[2:3], v7, off
	v_add_u32_e32 v2, 0x460, v4
	v_mov_b32_e32 v3, v5
	ds_read2_b32 v[6:7], v6 offset0:96 offset1:152
	v_lshlrev_b64 v[2:3], 2, v[2:3]
	v_add_co_u32_e32 v2, vcc, v1, v2
	v_addc_co_u32_e32 v3, vcc, v0, v3, vcc
	s_waitcnt lgkmcnt(0)
	global_store_dword v[2:3], v6, off
	v_add_u32_e32 v2, 0x498, v4
	v_mov_b32_e32 v3, v5
	v_lshlrev_b64 v[2:3], 2, v[2:3]
	v_add_u32_e32 v6, 0x1200, v8
	v_add_co_u32_e32 v2, vcc, v1, v2
	v_addc_co_u32_e32 v3, vcc, v0, v3, vcc
	global_store_dword v[2:3], v7, off
	v_add_u32_e32 v2, 0x4d0, v4
	v_mov_b32_e32 v3, v5
	ds_read2_b32 v[6:7], v6 offset0:80 offset1:136
	v_lshlrev_b64 v[2:3], 2, v[2:3]
	v_add_co_u32_e32 v2, vcc, v1, v2
	v_addc_co_u32_e32 v3, vcc, v0, v3, vcc
	s_waitcnt lgkmcnt(0)
	global_store_dword v[2:3], v6, off
	v_add_u32_e32 v2, 0x508, v4
	v_mov_b32_e32 v3, v5
	v_lshlrev_b64 v[2:3], 2, v[2:3]
	v_add_co_u32_e32 v2, vcc, v1, v2
	v_addc_co_u32_e32 v3, vcc, v0, v3, vcc
	global_store_dword v[2:3], v7, off
	v_add_u32_e32 v2, 0x540, v4
	v_mov_b32_e32 v3, v5
	ds_read2_b32 v[6:7], v9 offset0:64 offset1:120
	v_lshlrev_b64 v[2:3], 2, v[2:3]
	v_add_co_u32_e32 v2, vcc, v1, v2
	v_addc_co_u32_e32 v3, vcc, v0, v3, vcc
	s_waitcnt lgkmcnt(0)
	global_store_dword v[2:3], v6, off
	v_add_u32_e32 v2, 0x578, v4
	v_mov_b32_e32 v3, v5
	v_lshlrev_b64 v[2:3], 2, v[2:3]
	v_add_co_u32_e32 v2, vcc, v1, v2
	v_addc_co_u32_e32 v3, vcc, v0, v3, vcc
	global_store_dword v[2:3], v7, off
	v_add_u32_e32 v2, 0x5b0, v4
	v_mov_b32_e32 v3, v5
	ds_read2_b32 v[6:7], v9 offset0:176 offset1:232
	v_lshlrev_b64 v[2:3], 2, v[2:3]
	v_add_u32_e32 v9, 0x1800, v8
	v_add_co_u32_e32 v2, vcc, v1, v2
	v_addc_co_u32_e32 v3, vcc, v0, v3, vcc
	s_waitcnt lgkmcnt(0)
	global_store_dword v[2:3], v6, off
	v_add_u32_e32 v2, 0x5e8, v4
	v_mov_b32_e32 v3, v5
	v_lshlrev_b64 v[2:3], 2, v[2:3]
	v_add_co_u32_e32 v2, vcc, v1, v2
	v_addc_co_u32_e32 v3, vcc, v0, v3, vcc
	global_store_dword v[2:3], v7, off
	v_add_u32_e32 v2, 0x620, v4
	v_mov_b32_e32 v3, v5
	ds_read2_b32 v[6:7], v9 offset0:32 offset1:88
	v_lshlrev_b64 v[2:3], 2, v[2:3]
	v_add_co_u32_e32 v2, vcc, v1, v2
	v_addc_co_u32_e32 v3, vcc, v0, v3, vcc
	s_waitcnt lgkmcnt(0)
	global_store_dword v[2:3], v6, off
	v_add_u32_e32 v2, 0x658, v4
	v_mov_b32_e32 v3, v5
	v_lshlrev_b64 v[2:3], 2, v[2:3]
	v_add_co_u32_e32 v2, vcc, v1, v2
	v_addc_co_u32_e32 v3, vcc, v0, v3, vcc
	global_store_dword v[2:3], v7, off
	v_add_u32_e32 v2, 0x690, v4
	v_mov_b32_e32 v3, v5
	ds_read2_b32 v[6:7], v9 offset0:144 offset1:200
	v_lshlrev_b64 v[2:3], 2, v[2:3]
	v_add_co_u32_e32 v2, vcc, v1, v2
	v_addc_co_u32_e32 v3, vcc, v0, v3, vcc
	s_waitcnt lgkmcnt(0)
	global_store_dword v[2:3], v6, off
	v_add_u32_e32 v2, 0x6c8, v4
	v_mov_b32_e32 v3, v5
	v_lshlrev_b64 v[2:3], 2, v[2:3]
	v_add_u32_e32 v6, 0x1c00, v8
	v_add_co_u32_e32 v2, vcc, v1, v2
	v_addc_co_u32_e32 v3, vcc, v0, v3, vcc
	global_store_dword v[2:3], v7, off
	v_add_u32_e32 v2, 0x700, v4
	v_mov_b32_e32 v3, v5
	ds_read2_b32 v[6:7], v6 offset1:56
	v_lshlrev_b64 v[2:3], 2, v[2:3]
	v_add_co_u32_e32 v2, vcc, v1, v2
	v_addc_co_u32_e32 v3, vcc, v0, v3, vcc
	s_waitcnt lgkmcnt(0)
	global_store_dword v[2:3], v6, off
	v_add_u32_e32 v2, 0x738, v4
	v_mov_b32_e32 v3, v5
	v_lshlrev_b64 v[2:3], 2, v[2:3]
	ds_read_b32 v6, v8 offset:7616
	v_add_co_u32_e32 v2, vcc, v1, v2
	v_addc_co_u32_e32 v3, vcc, v0, v3, vcc
	global_store_dword v[2:3], v7, off
	v_add_u32_e32 v2, 0x770, v4
	v_mov_b32_e32 v3, v5
	v_lshlrev_b64 v[2:3], 2, v[2:3]
	v_add_co_u32_e32 v2, vcc, v1, v2
	v_addc_co_u32_e32 v3, vcc, v0, v3, vcc
	v_cmp_eq_u32_e32 vcc, 55, v4
	s_waitcnt lgkmcnt(0)
	global_store_dword v[2:3], v6, off
	s_and_b64 exec, exec, vcc
	s_cbranch_execz .LBB0_30
; %bb.29:
	ds_read_b32 v3, v5 offset:7840
	v_add_co_u32_e32 v1, vcc, 0x1000, v1
	v_addc_co_u32_e32 v2, vcc, 0, v0, vcc
	s_waitcnt lgkmcnt(0)
	global_store_dword v[1:2], v3, off offset:3744
.LBB0_30:
	s_endpgm
	.section	.rodata,"a",@progbits
	.p2align	6, 0x0
	.amdhsa_kernel fft_rtc_back_len1960_factors_4_7_2_7_5_wgs_56_tpt_56_halfLds_half_op_CI_CI_unitstride_sbrr_R2C_dirReg
		.amdhsa_group_segment_fixed_size 0
		.amdhsa_private_segment_fixed_size 0
		.amdhsa_kernarg_size 104
		.amdhsa_user_sgpr_count 6
		.amdhsa_user_sgpr_private_segment_buffer 1
		.amdhsa_user_sgpr_dispatch_ptr 0
		.amdhsa_user_sgpr_queue_ptr 0
		.amdhsa_user_sgpr_kernarg_segment_ptr 1
		.amdhsa_user_sgpr_dispatch_id 0
		.amdhsa_user_sgpr_flat_scratch_init 0
		.amdhsa_user_sgpr_private_segment_size 0
		.amdhsa_uses_dynamic_stack 0
		.amdhsa_system_sgpr_private_segment_wavefront_offset 0
		.amdhsa_system_sgpr_workgroup_id_x 1
		.amdhsa_system_sgpr_workgroup_id_y 0
		.amdhsa_system_sgpr_workgroup_id_z 0
		.amdhsa_system_sgpr_workgroup_info 0
		.amdhsa_system_vgpr_workitem_id 0
		.amdhsa_next_free_vgpr 125
		.amdhsa_next_free_sgpr 28
		.amdhsa_reserve_vcc 1
		.amdhsa_reserve_flat_scratch 0
		.amdhsa_float_round_mode_32 0
		.amdhsa_float_round_mode_16_64 0
		.amdhsa_float_denorm_mode_32 3
		.amdhsa_float_denorm_mode_16_64 3
		.amdhsa_dx10_clamp 1
		.amdhsa_ieee_mode 1
		.amdhsa_fp16_overflow 0
		.amdhsa_exception_fp_ieee_invalid_op 0
		.amdhsa_exception_fp_denorm_src 0
		.amdhsa_exception_fp_ieee_div_zero 0
		.amdhsa_exception_fp_ieee_overflow 0
		.amdhsa_exception_fp_ieee_underflow 0
		.amdhsa_exception_fp_ieee_inexact 0
		.amdhsa_exception_int_div_zero 0
	.end_amdhsa_kernel
	.text
.Lfunc_end0:
	.size	fft_rtc_back_len1960_factors_4_7_2_7_5_wgs_56_tpt_56_halfLds_half_op_CI_CI_unitstride_sbrr_R2C_dirReg, .Lfunc_end0-fft_rtc_back_len1960_factors_4_7_2_7_5_wgs_56_tpt_56_halfLds_half_op_CI_CI_unitstride_sbrr_R2C_dirReg
                                        ; -- End function
	.section	.AMDGPU.csdata,"",@progbits
; Kernel info:
; codeLenInByte = 24588
; NumSgprs: 32
; NumVgprs: 125
; ScratchSize: 0
; MemoryBound: 0
; FloatMode: 240
; IeeeMode: 1
; LDSByteSize: 0 bytes/workgroup (compile time only)
; SGPRBlocks: 3
; VGPRBlocks: 31
; NumSGPRsForWavesPerEU: 32
; NumVGPRsForWavesPerEU: 125
; Occupancy: 2
; WaveLimiterHint : 1
; COMPUTE_PGM_RSRC2:SCRATCH_EN: 0
; COMPUTE_PGM_RSRC2:USER_SGPR: 6
; COMPUTE_PGM_RSRC2:TRAP_HANDLER: 0
; COMPUTE_PGM_RSRC2:TGID_X_EN: 1
; COMPUTE_PGM_RSRC2:TGID_Y_EN: 0
; COMPUTE_PGM_RSRC2:TGID_Z_EN: 0
; COMPUTE_PGM_RSRC2:TIDIG_COMP_CNT: 0
	.type	__hip_cuid_933e043f2d0988ba,@object ; @__hip_cuid_933e043f2d0988ba
	.section	.bss,"aw",@nobits
	.globl	__hip_cuid_933e043f2d0988ba
__hip_cuid_933e043f2d0988ba:
	.byte	0                               ; 0x0
	.size	__hip_cuid_933e043f2d0988ba, 1

	.ident	"AMD clang version 19.0.0git (https://github.com/RadeonOpenCompute/llvm-project roc-6.4.0 25133 c7fe45cf4b819c5991fe208aaa96edf142730f1d)"
	.section	".note.GNU-stack","",@progbits
	.addrsig
	.addrsig_sym __hip_cuid_933e043f2d0988ba
	.amdgpu_metadata
---
amdhsa.kernels:
  - .args:
      - .actual_access:  read_only
        .address_space:  global
        .offset:         0
        .size:           8
        .value_kind:     global_buffer
      - .offset:         8
        .size:           8
        .value_kind:     by_value
      - .actual_access:  read_only
        .address_space:  global
        .offset:         16
        .size:           8
        .value_kind:     global_buffer
      - .actual_access:  read_only
        .address_space:  global
        .offset:         24
        .size:           8
        .value_kind:     global_buffer
      - .actual_access:  read_only
        .address_space:  global
        .offset:         32
        .size:           8
        .value_kind:     global_buffer
      - .offset:         40
        .size:           8
        .value_kind:     by_value
      - .actual_access:  read_only
        .address_space:  global
        .offset:         48
        .size:           8
        .value_kind:     global_buffer
      - .actual_access:  read_only
        .address_space:  global
        .offset:         56
        .size:           8
        .value_kind:     global_buffer
      - .offset:         64
        .size:           4
        .value_kind:     by_value
      - .actual_access:  read_only
        .address_space:  global
        .offset:         72
        .size:           8
        .value_kind:     global_buffer
      - .actual_access:  read_only
        .address_space:  global
        .offset:         80
        .size:           8
        .value_kind:     global_buffer
      - .actual_access:  read_only
        .address_space:  global
        .offset:         88
        .size:           8
        .value_kind:     global_buffer
      - .actual_access:  write_only
        .address_space:  global
        .offset:         96
        .size:           8
        .value_kind:     global_buffer
    .group_segment_fixed_size: 0
    .kernarg_segment_align: 8
    .kernarg_segment_size: 104
    .language:       OpenCL C
    .language_version:
      - 2
      - 0
    .max_flat_workgroup_size: 56
    .name:           fft_rtc_back_len1960_factors_4_7_2_7_5_wgs_56_tpt_56_halfLds_half_op_CI_CI_unitstride_sbrr_R2C_dirReg
    .private_segment_fixed_size: 0
    .sgpr_count:     32
    .sgpr_spill_count: 0
    .symbol:         fft_rtc_back_len1960_factors_4_7_2_7_5_wgs_56_tpt_56_halfLds_half_op_CI_CI_unitstride_sbrr_R2C_dirReg.kd
    .uniform_work_group_size: 1
    .uses_dynamic_stack: false
    .vgpr_count:     125
    .vgpr_spill_count: 0
    .wavefront_size: 64
amdhsa.target:   amdgcn-amd-amdhsa--gfx906
amdhsa.version:
  - 1
  - 2
...

	.end_amdgpu_metadata
